;; amdgpu-corpus repo=ggml-org/llama.cpp kind=compiled arch=gfx1250 opt=O3
	.amdgcn_target "amdgcn-amd-amdhsa--gfx1250"
	.amdhsa_code_object_version 6
	.section	.text._ZL11upscale_f32PKfPfiiiiiiiiffff,"axG",@progbits,_ZL11upscale_f32PKfPfiiiiiiiiffff,comdat
	.globl	_ZL11upscale_f32PKfPfiiiiiiiiffff ; -- Begin function _ZL11upscale_f32PKfPfiiiiiiiiffff
	.p2align	8
	.type	_ZL11upscale_f32PKfPfiiiiiiiiffff,@function
_ZL11upscale_f32PKfPfiiiiiiiiffff:      ; @_ZL11upscale_f32PKfPfiiiiiiiiffff
; %bb.0:
	s_clause 0x1
	s_load_b32 s2, s[0:1], 0x4c
	s_load_b256 s[4:11], s[0:1], 0x10
	s_bfe_u32 s3, ttmp6, 0x4000c
	s_and_b32 s12, ttmp6, 15
	s_add_co_i32 s3, s3, 1
	s_getreg_b32 s13, hwreg(HW_REG_IB_STS2, 6, 4)
	s_mul_i32 s3, ttmp9, s3
	s_delay_alu instid0(SALU_CYCLE_1) | instskip(SKIP_4) | instid1(SALU_CYCLE_1)
	s_add_co_i32 s12, s12, s3
	s_wait_kmcnt 0x0
	s_and_b32 s2, s2, 0xffff
	s_cmp_eq_u32 s13, 0
	s_cselect_b32 s3, ttmp9, s12
	v_mad_u32 v0, s3, s2, v0
	s_mul_i32 s2, s9, s8
	s_delay_alu instid0(SALU_CYCLE_1) | instskip(NEXT) | instid1(SALU_CYCLE_1)
	s_mul_i32 s3, s2, s10
	s_mul_i32 s12, s3, s11
	s_delay_alu instid0(VALU_DEP_1) | instid1(SALU_CYCLE_1)
	v_cmp_gt_i32_e32 vcc_lo, s12, v0
	s_and_saveexec_b32 s12, vcc_lo
	s_cbranch_execz .LBB0_2
; %bb.1:
	s_abs_i32 s12, s8
	s_abs_i32 s14, s2
	s_cvt_f32_u32 s13, s12
	s_abs_i32 s15, s3
	v_ashrrev_i32_e32 v2, 31, v0
	s_cvt_f32_u32 s17, s15
	v_rcp_iflag_f32_e32 v1, s13
	s_cvt_f32_u32 s13, s14
	s_abs_i32 s9, s9
	v_rcp_iflag_f32_e32 v4, s17
	s_sub_co_i32 s17, 0, s12
	v_rcp_iflag_f32_e32 v3, s13
	s_cvt_f32_u32 s19, s9
	v_nop
	v_readfirstlane_b32 s13, v1
	v_sub_nc_u32_e32 v1, 0, v0
	s_abs_i32 s10, s10
	v_rcp_iflag_f32_e32 v5, s19
	v_readfirstlane_b32 s21, v4
	s_mul_f32 s13, s13, 0x4f7ffffe
	v_readfirstlane_b32 s18, v3
	v_max_i32_e32 v1, v0, v1
	s_sub_co_i32 s20, 0, s14
	s_cvt_u32_f32 s13, s13
	s_ashr_i32 s2, s2, 31
	s_mul_f32 s18, s18, 0x4f7ffffe
	v_xor_b32_e32 v10, s2, v2
	s_mul_i32 s17, s17, s13
	s_ashr_i32 s16, s8, 31
	s_mul_hi_u32 s17, s13, s17
	s_cvt_u32_f32 s18, s18
	s_add_co_i32 s13, s13, s17
	s_mul_f32 s17, s21, 0x4f7ffffe
	v_mul_hi_u32 v3, v1, s13
	s_cvt_f32_u32 s13, s10
	s_mul_i32 s20, s20, s18
	s_cvt_u32_f32 s17, s17
	s_mul_hi_u32 s20, s18, s20
	v_rcp_iflag_f32_e32 v7, s13
	v_nop
	v_readfirstlane_b32 s13, v5
	s_add_co_i32 s18, s18, s20
	s_sub_co_i32 s21, 0, s15
	s_abs_i32 s11, s11
	s_mul_i32 s21, s21, s17
	s_mul_f32 s2, s13, 0x4f7ffffe
	v_readfirstlane_b32 s13, v7
	v_add_nc_u32_e32 v7, 1, v3
	v_mul_hi_u32 v4, v1, s18
	v_mul_lo_u32 v6, v3, s12
	s_mul_hi_u32 s18, s17, s21
	s_ashr_i32 s3, s3, 31
	s_add_co_i32 s17, s17, s18
	s_delay_alu instid0(SALU_CYCLE_1) | instskip(SKIP_1) | instid1(VALU_DEP_3)
	v_mul_hi_u32 v8, v1, s17
	s_sub_co_i32 s17, 0, s9
	v_mul_lo_u32 v9, v4, s14
	s_delay_alu instid0(VALU_DEP_3) | instskip(NEXT) | instid1(VALU_DEP_1)
	v_sub_nc_u32_e32 v6, v1, v6
	v_cmp_le_u32_e32 vcc_lo, s12, v6
	s_delay_alu instid0(VALU_DEP_4)
	v_mul_lo_u32 v11, v8, s15
	v_xor_b32_e32 v5, s16, v2
	s_cvt_u32_f32 s16, s2
	v_dual_cndmask_b32 v3, v3, v7, vcc_lo :: v_dual_sub_nc_u32 v7, v1, v9
	v_add_nc_u32_e32 v9, 1, v4
	v_subrev_nc_u32_e32 v12, s12, v6
	s_mul_i32 s17, s17, s16
	s_delay_alu instid0(VALU_DEP_1) | instskip(SKIP_2) | instid1(VALU_DEP_3)
	v_dual_cndmask_b32 v6, v6, v12 :: v_dual_sub_nc_u32 v1, v1, v11
	v_add_nc_u32_e32 v12, 1, v3
	v_cmp_le_u32_e32 vcc_lo, s14, v7
	v_cmp_le_u32_e64 s2, s12, v6
	v_dual_add_nc_u32 v6, 1, v8 :: v_dual_cndmask_b32 v4, v4, v9, vcc_lo
	v_subrev_nc_u32_e32 v9, s14, v7
	s_cvt_f32_u32 s12, s11
	v_cndmask_b32_e64 v3, v3, v12, s2
	s_delay_alu instid0(VALU_DEP_2) | instskip(SKIP_1) | instid1(VALU_DEP_3)
	v_dual_cndmask_b32 v7, v7, v9, vcc_lo :: v_dual_add_nc_u32 v9, 1, v4
	v_cmp_le_u32_e32 vcc_lo, s15, v1
	v_xor_b32_e32 v3, v3, v5
	s_delay_alu instid0(VALU_DEP_3) | instskip(SKIP_2) | instid1(VALU_DEP_4)
	v_cmp_le_u32_e64 s2, s14, v7
	v_cndmask_b32_e32 v6, v8, v6, vcc_lo
	v_subrev_nc_u32_e32 v8, s15, v1
	v_sub_nc_u32_e32 v3, v3, v5
	s_delay_alu instid0(VALU_DEP_4) | instskip(SKIP_1) | instid1(VALU_DEP_3)
	v_cndmask_b32_e64 v4, v4, v9, s2
	s_mul_hi_u32 s2, s16, s17
	v_dual_add_nc_u32 v5, 1, v6 :: v_dual_cndmask_b32 v1, v1, v8, vcc_lo
	s_delay_alu instid0(VALU_DEP_2) | instskip(SKIP_2) | instid1(VALU_DEP_2)
	v_dual_sub_nc_u32 v7, 0, v3 :: v_dual_bitop2_b32 v4, v4, v10 bitop3:0x14
	s_add_co_i32 s16, s16, s2
	s_mul_f32 s2, s13, 0x4f7ffffe
	v_cmp_le_u32_e32 vcc_lo, s15, v1
	v_xor_b32_e32 v2, s3, v2
	v_sub_nc_u32_e32 v4, v4, v10
	s_cvt_u32_f32 s2, s2
	s_sub_co_i32 s13, 0, s11
	v_cndmask_b32_e32 v1, v6, v5, vcc_lo
	v_rcp_iflag_f32_e32 v5, s12
	v_max_i32_e32 v6, v3, v7
	s_sub_co_i32 s12, 0, s10
	s_delay_alu instid0(VALU_DEP_2) | instskip(SKIP_1) | instid1(VALU_DEP_2)
	v_xor_b32_e32 v1, v1, v2
	s_mul_i32 s12, s12, s2
	v_mul_hi_u32 v7, v6, s16
	s_delay_alu instid0(TRANS32_DEP_1) | instskip(NEXT) | instid1(VALU_DEP_3)
	v_readfirstlane_b32 s3, v5
	v_dual_sub_nc_u32 v5, 0, v4 :: v_dual_sub_nc_u32 v1, v1, v2
	s_mul_hi_u32 s12, s2, s12
	s_delay_alu instid0(SALU_CYCLE_1) | instskip(NEXT) | instid1(VALU_DEP_1)
	s_add_co_i32 s2, s2, s12
	v_max_i32_e32 v2, v4, v5
	s_mul_f32 s3, s3, 0x4f7ffffe
	v_ashrrev_i32_e32 v4, 31, v4
	v_mul_lo_u32 v7, v7, s9
	s_delay_alu instid0(VALU_DEP_3) | instskip(SKIP_2) | instid1(SALU_CYCLE_3)
	v_mul_hi_u32 v8, v2, s2
	v_sub_nc_u32_e32 v5, 0, v1
	s_cvt_u32_f32 s3, s3
	s_mul_i32 s13, s13, s3
	s_delay_alu instid0(SALU_CYCLE_1) | instskip(NEXT) | instid1(VALU_DEP_3)
	s_mul_hi_u32 s12, s3, s13
	v_sub_nc_u32_e32 v6, v6, v7
	s_delay_alu instid0(VALU_DEP_3)
	v_mul_lo_u32 v8, v8, s10
	v_max_i32_e32 v5, v1, v5
	s_add_co_i32 s3, s3, s12
	s_clause 0x1
	s_load_b128 s[16:19], s[0:1], 0x30
	s_load_b128 s[12:15], s[0:1], 0x0
	v_subrev_nc_u32_e32 v7, s9, v6
	v_cmp_le_u32_e32 vcc_lo, s9, v6
	s_delay_alu instid0(VALU_DEP_4) | instskip(SKIP_1) | instid1(VALU_DEP_2)
	v_dual_ashrrev_i32 v1, 31, v1 :: v_dual_sub_nc_u32 v2, v2, v8
	v_mul_hi_u32 v9, v5, s3
	v_subrev_nc_u32_e32 v8, s10, v2
	s_delay_alu instid0(VALU_DEP_2)
	v_mul_lo_u32 v9, v9, s11
	v_cndmask_b32_e32 v6, v6, v7, vcc_lo
	v_cmp_le_u32_e32 vcc_lo, s10, v2
	v_mul_lo_u32 v7, v3, s8
	v_dual_cndmask_b32 v2, v2, v8 :: v_dual_ashrrev_i32 v3, 31, v3
	v_sub_nc_u32_e32 v5, v5, v9
	v_subrev_nc_u32_e32 v9, s9, v6
	v_cmp_le_u32_e32 vcc_lo, s9, v6
	v_sub_nc_u32_e32 v7, v0, v7
	v_subrev_nc_u32_e32 v8, s10, v2
	v_subrev_nc_u32_e32 v10, s11, v5
	v_cndmask_b32_e32 v6, v6, v9, vcc_lo
	v_cmp_le_u32_e32 vcc_lo, s11, v5
	v_cvt_f32_i32_e32 v7, v7
	s_delay_alu instid0(VALU_DEP_4) | instskip(SKIP_2) | instid1(VALU_DEP_3)
	v_cndmask_b32_e32 v5, v5, v10, vcc_lo
	v_cmp_le_u32_e32 vcc_lo, s10, v2
	v_xor_b32_e32 v6, v6, v3
	v_subrev_nc_u32_e32 v9, s11, v5
	v_cndmask_b32_e32 v2, v2, v8, vcc_lo
	v_cmp_le_u32_e32 vcc_lo, s11, v5
	s_wait_kmcnt 0x0
	v_div_scale_f32 v8, null, s16, s16, v7
	v_dual_cndmask_b32 v5, v5, v9, vcc_lo :: v_dual_sub_nc_u32 v3, v6, v3
	s_delay_alu instid0(VALU_DEP_2) | instskip(SKIP_1) | instid1(VALU_DEP_2)
	v_rcp_f32_e32 v6, v8
	v_div_scale_f32 v11, vcc_lo, v7, s16, v7
	v_xor_b32_e32 v5, v5, v1
	v_xor_b32_e32 v2, v2, v4
	v_cvt_f32_i32_e32 v3, v3
	s_delay_alu instid0(VALU_DEP_2) | instskip(NEXT) | instid1(TRANS32_DEP_1)
	v_dual_sub_nc_u32 v1, v5, v1 :: v_dual_sub_nc_u32 v2, v2, v4
	v_fma_f32 v4, -v8, v6, 1.0
	s_delay_alu instid0(VALU_DEP_3) | instskip(NEXT) | instid1(VALU_DEP_3)
	v_div_scale_f32 v5, null, s17, s17, v3
	v_cvt_f32_i32_e32 v1, v1
	s_delay_alu instid0(VALU_DEP_3) | instskip(SKIP_1) | instid1(VALU_DEP_4)
	v_fmac_f32_e32 v6, v4, v6
	v_cvt_f32_i32_e32 v2, v2
	v_rcp_f32_e32 v4, v5
	s_delay_alu instid0(VALU_DEP_3) | instskip(NEXT) | instid1(VALU_DEP_2)
	v_div_scale_f32 v12, null, s19, s19, v1
	v_div_scale_f32 v9, null, s18, s18, v2
	s_delay_alu instid0(VALU_DEP_2) | instskip(NEXT) | instid1(TRANS32_DEP_2)
	v_rcp_f32_e32 v16, v12
	v_fma_f32 v13, -v5, v4, 1.0
	v_mul_f32_e32 v14, v11, v6
	s_delay_alu instid0(VALU_DEP_3) | instskip(NEXT) | instid1(VALU_DEP_2)
	v_rcp_f32_e32 v10, v9
	v_fmac_f32_e32 v4, v13, v4
	v_div_scale_f32 v13, s0, v3, s17, v3
	s_delay_alu instid0(TRANS32_DEP_2) | instskip(NEXT) | instid1(TRANS32_DEP_1)
	v_fma_f32 v17, -v12, v16, 1.0
	v_fma_f32 v15, -v9, v10, 1.0
	s_delay_alu instid0(VALU_DEP_3) | instskip(NEXT) | instid1(VALU_DEP_2)
	v_dual_fma_f32 v18, -v8, v14, v11 :: v_dual_mul_f32 v19, v13, v4
	v_dual_fmac_f32 v16, v17, v16 :: v_dual_fmac_f32 v10, v15, v10
	v_div_scale_f32 v15, s1, v2, s18, v2
	v_div_scale_f32 v17, s2, v1, s19, v1
	s_delay_alu instid0(VALU_DEP_2) | instskip(SKIP_1) | instid1(VALU_DEP_2)
	v_mul_f32_e32 v20, v15, v10
	v_dual_fmac_f32 v14, v18, v6 :: v_dual_fma_f32 v18, -v5, v19, v13
	v_fma_f32 v21, -v9, v20, v15
	s_delay_alu instid0(VALU_DEP_2) | instskip(NEXT) | instid1(VALU_DEP_2)
	v_dual_mul_f32 v22, v17, v16 :: v_dual_fma_f32 v8, -v8, v14, v11
	v_dual_fmac_f32 v19, v18, v4 :: v_dual_fmac_f32 v20, v21, v10
	s_delay_alu instid0(VALU_DEP_2) | instskip(NEXT) | instid1(VALU_DEP_3)
	v_fma_f32 v11, -v12, v22, v17
	v_div_fmas_f32 v6, v8, v6, v14
	s_mov_b32 vcc_lo, s0
	s_delay_alu instid0(VALU_DEP_3) | instskip(NEXT) | instid1(VALU_DEP_3)
	v_fma_f32 v8, -v9, v20, v15
	v_dual_fma_f32 v5, -v5, v19, v13 :: v_dual_fmac_f32 v22, v11, v16
	s_delay_alu instid0(VALU_DEP_1) | instskip(NEXT) | instid1(VALU_DEP_2)
	v_div_fmas_f32 v4, v5, v4, v19
	v_fma_f32 v5, -v12, v22, v17
	s_mov_b32 vcc_lo, s1
	v_div_fmas_f32 v8, v8, v10, v20
	s_mov_b32 vcc_lo, s2
	v_div_fixup_f32 v3, v4, s17, v3
	v_div_fmas_f32 v5, v5, v16, v22
	s_delay_alu instid0(VALU_DEP_1) | instskip(SKIP_1) | instid1(VALU_DEP_2)
	v_div_fixup_f32 v1, v5, s19, v1
	v_div_fixup_f32 v5, v8, s18, v2
	v_cvt_i32_f32_e32 v1, v1
	s_delay_alu instid0(VALU_DEP_1) | instskip(NEXT) | instid1(VALU_DEP_3)
	v_mul_lo_u32 v2, s7, v1
	v_cvt_i32_f32_e32 v1, v5
	v_div_fixup_f32 v5, v6, s16, v7
	s_delay_alu instid0(VALU_DEP_2) | instskip(SKIP_2) | instid1(VALU_DEP_2)
	v_mul_lo_u32 v4, s6, v1
	v_cvt_i32_f32_e32 v1, v3
	v_ashrrev_i32_e32 v3, 31, v2
	v_mul_lo_u32 v6, s5, v1
	v_cvt_i32_f32_e32 v1, v5
	v_ashrrev_i32_e32 v5, 31, v4
	s_delay_alu instid0(VALU_DEP_4) | instskip(NEXT) | instid1(VALU_DEP_3)
	v_add_nc_u64_e32 v[2:3], s[12:13], v[2:3]
	v_mul_lo_u32 v8, s4, v1
	v_ashrrev_i32_e32 v7, 31, v6
	s_delay_alu instid0(VALU_DEP_3) | instskip(NEXT) | instid1(VALU_DEP_3)
	v_add_nc_u64_e32 v[2:3], v[2:3], v[4:5]
	v_ashrrev_i32_e32 v9, 31, v8
	s_delay_alu instid0(VALU_DEP_2) | instskip(NEXT) | instid1(VALU_DEP_1)
	v_add_nc_u64_e32 v[2:3], v[2:3], v[6:7]
	v_add_nc_u64_e32 v[2:3], v[2:3], v[8:9]
	global_load_b32 v1, v[2:3], off
	s_wait_loadcnt 0x0
	global_store_b32 v0, v1, s[14:15] scale_offset
.LBB0_2:
	s_endpgm
	.section	.rodata,"a",@progbits
	.p2align	6, 0x0
	.amdhsa_kernel _ZL11upscale_f32PKfPfiiiiiiiiffff
		.amdhsa_group_segment_fixed_size 0
		.amdhsa_private_segment_fixed_size 0
		.amdhsa_kernarg_size 320
		.amdhsa_user_sgpr_count 2
		.amdhsa_user_sgpr_dispatch_ptr 0
		.amdhsa_user_sgpr_queue_ptr 0
		.amdhsa_user_sgpr_kernarg_segment_ptr 1
		.amdhsa_user_sgpr_dispatch_id 0
		.amdhsa_user_sgpr_kernarg_preload_length 0
		.amdhsa_user_sgpr_kernarg_preload_offset 0
		.amdhsa_user_sgpr_private_segment_size 0
		.amdhsa_wavefront_size32 1
		.amdhsa_uses_dynamic_stack 0
		.amdhsa_enable_private_segment 0
		.amdhsa_system_sgpr_workgroup_id_x 1
		.amdhsa_system_sgpr_workgroup_id_y 0
		.amdhsa_system_sgpr_workgroup_id_z 0
		.amdhsa_system_sgpr_workgroup_info 0
		.amdhsa_system_vgpr_workitem_id 0
		.amdhsa_next_free_vgpr 23
		.amdhsa_next_free_sgpr 22
		.amdhsa_named_barrier_count 0
		.amdhsa_reserve_vcc 1
		.amdhsa_float_round_mode_32 0
		.amdhsa_float_round_mode_16_64 0
		.amdhsa_float_denorm_mode_32 3
		.amdhsa_float_denorm_mode_16_64 3
		.amdhsa_fp16_overflow 0
		.amdhsa_memory_ordered 1
		.amdhsa_forward_progress 1
		.amdhsa_inst_pref_size 12
		.amdhsa_round_robin_scheduling 0
		.amdhsa_exception_fp_ieee_invalid_op 0
		.amdhsa_exception_fp_denorm_src 0
		.amdhsa_exception_fp_ieee_div_zero 0
		.amdhsa_exception_fp_ieee_overflow 0
		.amdhsa_exception_fp_ieee_underflow 0
		.amdhsa_exception_fp_ieee_inexact 0
		.amdhsa_exception_int_div_zero 0
	.end_amdhsa_kernel
	.section	.text._ZL11upscale_f32PKfPfiiiiiiiiffff,"axG",@progbits,_ZL11upscale_f32PKfPfiiiiiiiiffff,comdat
.Lfunc_end0:
	.size	_ZL11upscale_f32PKfPfiiiiiiiiffff, .Lfunc_end0-_ZL11upscale_f32PKfPfiiiiiiiiffff
                                        ; -- End function
	.set _ZL11upscale_f32PKfPfiiiiiiiiffff.num_vgpr, 23
	.set _ZL11upscale_f32PKfPfiiiiiiiiffff.num_agpr, 0
	.set _ZL11upscale_f32PKfPfiiiiiiiiffff.numbered_sgpr, 22
	.set _ZL11upscale_f32PKfPfiiiiiiiiffff.num_named_barrier, 0
	.set _ZL11upscale_f32PKfPfiiiiiiiiffff.private_seg_size, 0
	.set _ZL11upscale_f32PKfPfiiiiiiiiffff.uses_vcc, 1
	.set _ZL11upscale_f32PKfPfiiiiiiiiffff.uses_flat_scratch, 0
	.set _ZL11upscale_f32PKfPfiiiiiiiiffff.has_dyn_sized_stack, 0
	.set _ZL11upscale_f32PKfPfiiiiiiiiffff.has_recursion, 0
	.set _ZL11upscale_f32PKfPfiiiiiiiiffff.has_indirect_call, 0
	.section	.AMDGPU.csdata,"",@progbits
; Kernel info:
; codeLenInByte = 1460
; TotalNumSgprs: 24
; NumVgprs: 23
; ScratchSize: 0
; MemoryBound: 0
; FloatMode: 240
; IeeeMode: 1
; LDSByteSize: 0 bytes/workgroup (compile time only)
; SGPRBlocks: 0
; VGPRBlocks: 1
; NumSGPRsForWavesPerEU: 24
; NumVGPRsForWavesPerEU: 23
; NamedBarCnt: 0
; Occupancy: 16
; WaveLimiterHint : 0
; COMPUTE_PGM_RSRC2:SCRATCH_EN: 0
; COMPUTE_PGM_RSRC2:USER_SGPR: 2
; COMPUTE_PGM_RSRC2:TRAP_HANDLER: 0
; COMPUTE_PGM_RSRC2:TGID_X_EN: 1
; COMPUTE_PGM_RSRC2:TGID_Y_EN: 0
; COMPUTE_PGM_RSRC2:TGID_Z_EN: 0
; COMPUTE_PGM_RSRC2:TIDIG_COMP_CNT: 0
	.section	.text._ZL20upscale_f32_bilinearPKfPfiiiiiiiiiifffff,"axG",@progbits,_ZL20upscale_f32_bilinearPKfPfiiiiiiiiiifffff,comdat
	.globl	_ZL20upscale_f32_bilinearPKfPfiiiiiiiiiifffff ; -- Begin function _ZL20upscale_f32_bilinearPKfPfiiiiiiiiiifffff
	.p2align	8
	.type	_ZL20upscale_f32_bilinearPKfPfiiiiiiiiiifffff,@function
_ZL20upscale_f32_bilinearPKfPfiiiiiiiiiifffff: ; @_ZL20upscale_f32_bilinearPKfPfiiiiiiiiiifffff
; %bb.0:
	s_clause 0x2
	s_load_b32 s2, s[0:1], 0x5c
	s_load_b256 s[4:11], s[0:1], 0x10
	s_load_b128 s[12:15], s[0:1], 0x30
	s_bfe_u32 s3, ttmp6, 0x4000c
	s_and_b32 s16, ttmp6, 15
	s_add_co_i32 s3, s3, 1
	s_getreg_b32 s17, hwreg(HW_REG_IB_STS2, 6, 4)
	s_mul_i32 s3, ttmp9, s3
	v_mov_b32_e32 v1, 0
	s_add_co_i32 s16, s16, s3
	s_wait_kmcnt 0x0
	s_and_b32 s2, s2, 0xffff
	s_cmp_eq_u32 s17, 0
	s_cselect_b32 s3, ttmp9, s16
	s_delay_alu instid0(SALU_CYCLE_1) | instskip(SKIP_1) | instid1(SALU_CYCLE_1)
	v_mad_u32 v0, s3, s2, v0
	s_mul_i32 s2, s11, s10
	s_mul_i32 s3, s2, s12
	s_delay_alu instid0(SALU_CYCLE_1)
	s_mul_i32 s16, s3, s13
	s_mov_b32 s13, exec_lo
	s_ashr_i32 s17, s16, 31
	s_delay_alu instid0(VALU_DEP_1) | instid1(SALU_CYCLE_1)
	v_cmpx_gt_i64_e64 s[16:17], v[0:1]
	s_cbranch_execz .LBB1_2
; %bb.1:
	s_abs_i32 s13, s10
	s_abs_i32 s16, s2
	s_cvt_f32_u32 s17, s13
	s_cvt_f32_u32 s18, s16
	s_sub_co_i32 s19, 0, s13
	s_sub_co_i32 s20, 0, s16
	v_rcp_iflag_f32_e32 v2, s17
	v_rcp_iflag_f32_e32 v3, s18
	s_abs_i32 s11, s11
	s_abs_i32 s12, s12
	s_ashr_i32 s2, s2, 31
	s_add_co_i32 s8, s8, -1
	v_ashrrev_i32_e32 v6, 31, v0
	v_readfirstlane_b32 s17, v2
	v_readfirstlane_b32 s18, v3
	v_dual_sub_nc_u32 v3, 0, v0 :: v_dual_bitop2_b32 v2, s10, v0 bitop3:0x14
	s_mul_f32 s17, s17, 0x4f7ffffe
	s_mul_f32 s18, s18, 0x4f7ffffe
	s_delay_alu instid0(VALU_DEP_1) | instskip(NEXT) | instid1(SALU_CYCLE_1)
	v_max_i32_e32 v3, v0, v3
	s_cvt_u32_f32 s17, s17
	s_delay_alu instid0(SALU_CYCLE_1) | instskip(NEXT) | instid1(SALU_CYCLE_2)
	s_cvt_u32_f32 s18, s18
	s_mul_i32 s19, s19, s17
	s_delay_alu instid0(SALU_CYCLE_2)
	s_mul_i32 s20, s20, s18
	s_mul_hi_u32 s19, s17, s19
	s_mul_hi_u32 s20, s18, s20
	s_add_co_i32 s17, s17, s19
	s_add_co_i32 s18, s18, s20
	v_mul_hi_u32 v4, v3, s17
	v_mul_hi_u32 v5, v3, s18
	s_cvt_f32_u32 s17, s11
	s_abs_i32 s18, s3
	s_cvt_f32_u32 s19, s12
	s_cvt_f32_u32 s20, s18
	v_rcp_iflag_f32_e32 v7, s17
	s_sub_co_i32 s17, 0, s11
	v_rcp_iflag_f32_e32 v10, s19
	v_rcp_iflag_f32_e32 v11, s20
	s_sub_co_i32 s19, 0, s18
	v_mul_lo_u32 v8, v4, s13
	v_mul_lo_u32 v9, v5, s16
	v_ashrrev_i32_e32 v2, 31, v2
	v_xor_b32_e32 v12, s2, v6
	v_readfirstlane_b32 s2, v7
	v_readfirstlane_b32 s21, v11
	;; [unrolled: 1-line block ×3, first 2 shown]
	v_add_nc_u32_e32 v10, 1, v4
	s_mul_f32 s22, s2, 0x4f7ffffe
	s_mul_f32 s21, s21, 0x4f7ffffe
	v_dual_sub_nc_u32 v7, v3, v8 :: v_dual_sub_nc_u32 v8, v3, v9
	v_add_nc_u32_e32 v9, 1, v5
	s_delay_alu instid0(VALU_DEP_2) | instskip(NEXT) | instid1(VALU_DEP_3)
	v_subrev_nc_u32_e32 v11, s13, v7
	v_subrev_nc_u32_e32 v13, s16, v8
	v_cmp_le_u32_e32 vcc_lo, s16, v8
	v_cmp_le_u32_e64 s2, s13, v7
	s_delay_alu instid0(VALU_DEP_1) | instskip(NEXT) | instid1(VALU_DEP_4)
	v_dual_cndmask_b32 v5, v5, v9, vcc_lo :: v_dual_cndmask_b32 v4, v4, v10, s2
	v_dual_cndmask_b32 v8, v8, v13, vcc_lo :: v_dual_cndmask_b32 v7, v7, v11, s2
	s_cvt_u32_f32 s2, s21
	s_delay_alu instid0(VALU_DEP_2) | instskip(NEXT) | instid1(VALU_DEP_2)
	v_dual_add_nc_u32 v9, 1, v5 :: v_dual_add_nc_u32 v10, 1, v4
	v_cmp_le_u32_e32 vcc_lo, s16, v8
	s_delay_alu instid0(SALU_CYCLE_1) | instskip(NEXT) | instid1(SALU_CYCLE_1)
	s_mul_i32 s19, s19, s2
	s_mul_hi_u32 s16, s2, s19
	s_delay_alu instid0(VALU_DEP_2)
	v_cndmask_b32_e32 v5, v5, v9, vcc_lo
	v_cmp_le_u32_e32 vcc_lo, s13, v7
	s_add_co_i32 s2, s2, s16
	s_mul_f32 s13, s20, 0x4f7ffffe
	v_mul_hi_u32 v7, v3, s2
	s_sub_co_i32 s2, 0, s12
	v_cndmask_b32_e32 v4, v4, v10, vcc_lo
	s_cvt_u32_f32 s13, s13
	s_cvt_u32_f32 s16, s22
	s_load_b128 s[20:23], s[0:1], 0x40
	s_delay_alu instid0(VALU_DEP_1) | instskip(SKIP_3) | instid1(VALU_DEP_4)
	v_xor_b32_e32 v4, v4, v2
	v_xor_b32_e32 v5, v5, v12
	s_mul_i32 s2, s2, s13
	s_mul_i32 s17, s17, s16
	v_mul_lo_u32 v9, v7, s18
	s_delay_alu instid0(VALU_DEP_2) | instskip(SKIP_3) | instid1(VALU_DEP_1)
	v_dual_sub_nc_u32 v2, v4, v2 :: v_dual_sub_nc_u32 v5, v5, v12
	s_mul_hi_u32 s2, s13, s2
	s_mul_hi_u32 s17, s16, s17
	s_add_co_i32 s13, s13, s2
	v_dual_sub_nc_u32 v8, 0, v2 :: v_dual_sub_nc_u32 v4, 0, v5
	s_add_co_i32 s16, s16, s17
	s_ashr_i32 s2, s3, 31
	s_ashr_i32 s3, s7, 31
	s_delay_alu instid0(VALU_DEP_1) | instskip(NEXT) | instid1(VALU_DEP_4)
	v_max_i32_e32 v8, v2, v8
	v_dual_sub_nc_u32 v3, v3, v9 :: v_dual_max_i32 v4, v5, v4
	v_dual_add_nc_u32 v9, 1, v7 :: v_dual_bitop2_b32 v6, s2, v6 bitop3:0x14
	s_delay_alu instid0(VALU_DEP_3) | instskip(NEXT) | instid1(VALU_DEP_3)
	v_mul_hi_u32 v11, v8, s16
	v_mul_hi_u32 v10, v4, s13
	s_delay_alu instid0(VALU_DEP_4) | instskip(SKIP_2) | instid1(VALU_DEP_3)
	v_subrev_nc_u32_e32 v12, s18, v3
	v_cmp_le_u32_e32 vcc_lo, s18, v3
	v_cndmask_b32_e32 v7, v7, v9, vcc_lo
	v_cndmask_b32_e32 v3, v3, v12, vcc_lo
	v_mul_lo_u32 v11, v11, s11
	v_mul_lo_u32 v10, v10, s12
	s_delay_alu instid0(VALU_DEP_4) | instskip(NEXT) | instid1(VALU_DEP_4)
	v_add_nc_u32_e32 v9, 1, v7
	v_cmp_le_u32_e32 vcc_lo, s18, v3
	s_load_b128 s[16:19], s[0:1], 0x0
	s_delay_alu instid0(VALU_DEP_2) | instskip(NEXT) | instid1(VALU_DEP_4)
	v_dual_cndmask_b32 v3, v7, v9 :: v_dual_sub_nc_u32 v8, v8, v11
	v_sub_nc_u32_e32 v4, v4, v10
	s_delay_alu instid0(VALU_DEP_2) | instskip(NEXT) | instid1(VALU_DEP_3)
	v_xor_b32_e32 v3, v3, v6
	v_subrev_nc_u32_e32 v9, s11, v8
	s_delay_alu instid0(VALU_DEP_3) | instskip(SKIP_1) | instid1(VALU_DEP_4)
	v_subrev_nc_u32_e32 v7, s12, v4
	v_cmp_le_u32_e32 vcc_lo, s12, v4
	v_sub_nc_u32_e32 v3, v3, v6
	v_mul_lo_u32 v6, v2, s10
	s_delay_alu instid0(VALU_DEP_4) | instskip(SKIP_1) | instid1(VALU_DEP_4)
	v_dual_ashrrev_i32 v2, 31, v2 :: v_dual_cndmask_b32 v4, v4, v7, vcc_lo
	v_cmp_le_u32_e32 vcc_lo, s11, v8
	v_cvt_f32_i32_e32 v3, v3
	v_cndmask_b32_e32 v7, v8, v9, vcc_lo
	s_delay_alu instid0(VALU_DEP_4) | instskip(SKIP_2) | instid1(VALU_DEP_4)
	v_subrev_nc_u32_e32 v8, s12, v4
	v_cmp_le_u32_e32 vcc_lo, s12, v4
	v_dual_ashrrev_i32 v5, 31, v5 :: v_dual_sub_nc_u32 v6, v0, v6
	v_subrev_nc_u32_e32 v9, s11, v7
	s_wait_kmcnt 0x0
	v_lshl_add_u64 v[0:1], v[0:1], 2, s[18:19]
	v_cndmask_b32_e32 v4, v4, v8, vcc_lo
	v_cmp_le_u32_e32 vcc_lo, s11, v7
	v_div_scale_f32 v8, null, s21, s21, v3
	v_cndmask_b32_e32 v7, v7, v9, vcc_lo
	s_delay_alu instid0(VALU_DEP_1) | instskip(NEXT) | instid1(VALU_DEP_1)
	v_xor_b32_e32 v7, v7, v2
	v_dual_sub_nc_u32 v2, v7, v2 :: v_dual_bitop2_b32 v4, v4, v5 bitop3:0x14
	s_delay_alu instid0(VALU_DEP_1) | instskip(SKIP_3) | instid1(VALU_DEP_3)
	v_sub_nc_u32_e32 v4, v4, v5
	v_cvt_f32_u32_e32 v5, v6
	v_rcp_f32_e32 v7, v8
	v_div_scale_f32 v6, s0, v3, s21, v3
	v_cvt_f32_i32_e32 v4, v4
	v_cvt_f32_i32_e32 v2, v2
	v_add_f32_e32 v5, s22, v5
	s_delay_alu instid0(TRANS32_DEP_1) | instskip(NEXT) | instid1(VALU_DEP_4)
	v_fma_f32 v11, -v8, v7, 1.0
	v_div_scale_f32 v9, null, s20, s20, v4
	s_delay_alu instid0(VALU_DEP_4) | instskip(NEXT) | instid1(VALU_DEP_4)
	v_add_f32_e32 v10, s22, v2
	v_div_scale_f32 v2, null, s14, s14, v5
	s_delay_alu instid0(VALU_DEP_3) | instskip(SKIP_1) | instid1(VALU_DEP_3)
	v_rcp_f32_e32 v12, v9
	v_div_scale_f32 v19, vcc_lo, v4, s20, v4
	v_div_scale_f32 v13, null, s15, s15, v10
	s_delay_alu instid0(VALU_DEP_3) | instskip(NEXT) | instid1(TRANS32_DEP_2)
	v_rcp_f32_e32 v14, v2
	v_fma_f32 v16, -v9, v12, 1.0
	s_delay_alu instid0(VALU_DEP_2) | instskip(SKIP_2) | instid1(TRANS32_DEP_2)
	v_rcp_f32_e32 v15, v13
	v_fmac_f32_e32 v7, v11, v7
	v_div_scale_f32 v11, s1, v5, s14, v5
	v_fma_f32 v18, -v2, v14, 1.0
	s_delay_alu instid0(VALU_DEP_3) | instskip(NEXT) | instid1(TRANS32_DEP_1)
	v_dual_fmac_f32 v12, v16, v12 :: v_dual_mul_f32 v17, v6, v7
	v_fma_f32 v16, -v13, v15, 1.0
	s_delay_alu instid0(VALU_DEP_3) | instskip(SKIP_1) | instid1(VALU_DEP_3)
	v_fmac_f32_e32 v14, v18, v14
	v_div_scale_f32 v18, s2, v10, s15, v10
	v_dual_mul_f32 v20, v19, v12 :: v_dual_fmac_f32 v15, v16, v15
	s_delay_alu instid0(VALU_DEP_3) | instskip(NEXT) | instid1(VALU_DEP_2)
	v_dual_mul_f32 v16, v11, v14 :: v_dual_fma_f32 v21, -v8, v17, v6
	v_dual_fma_f32 v22, -v9, v20, v19 :: v_dual_mul_f32 v23, v18, v15
	s_delay_alu instid0(VALU_DEP_2) | instskip(NEXT) | instid1(VALU_DEP_2)
	v_dual_fma_f32 v24, -v2, v16, v11 :: v_dual_fmac_f32 v17, v21, v7
	v_dual_fmac_f32 v20, v22, v12 :: v_dual_fma_f32 v21, -v13, v23, v18
	s_delay_alu instid0(VALU_DEP_2) | instskip(NEXT) | instid1(VALU_DEP_2)
	v_fmac_f32_e32 v16, v24, v14
	v_dual_fma_f32 v6, -v8, v17, v6 :: v_dual_fma_f32 v8, -v9, v20, v19
	s_delay_alu instid0(VALU_DEP_3) | instskip(NEXT) | instid1(VALU_DEP_3)
	v_fmac_f32_e32 v23, v21, v15
	v_fma_f32 v2, -v2, v16, v11
	s_delay_alu instid0(VALU_DEP_3) | instskip(NEXT) | instid1(VALU_DEP_3)
	v_div_fmas_f32 v8, v8, v12, v20
	v_fma_f32 v9, -v13, v23, v18
	s_mov_b32 vcc_lo, s0
	s_mov_b32 s0, s6
	v_div_fmas_f32 v6, v6, v7, v17
	s_mov_b32 vcc_lo, s2
	v_div_fixup_f32 v4, v8, s20, v4
	v_div_fmas_f32 v7, v9, v15, v23
	s_mov_b32 vcc_lo, s1
	s_ashr_i32 s1, s6, 31
	v_div_fmas_f32 v2, v2, v14, v16
	s_mov_b32 s2, s7
	s_delay_alu instid0(VALU_DEP_1) | instskip(SKIP_2) | instid1(VALU_DEP_3)
	v_div_fixup_f32 v2, v2, s14, v5
	v_div_fixup_f32 v5, v6, s21, v3
	;; [unrolled: 1-line block ×3, first 2 shown]
	v_subrev_f32_e32 v14, s22, v2
	v_cvt_i32_f32_e32 v2, v4
	s_delay_alu instid0(VALU_DEP_1) | instskip(NEXT) | instid1(VALU_DEP_3)
	v_ashrrev_i32_e32 v3, 31, v2
	v_floor_f32_e32 v4, v14
	s_delay_alu instid0(VALU_DEP_2) | instskip(NEXT) | instid1(VALU_DEP_2)
	v_mul_u64_e32 v[2:3], s[0:1], v[2:3]
	v_cvt_i32_f32_e32 v7, v4
	v_subrev_f32_e32 v15, s22, v6
	v_cvt_i32_f32_e32 v4, v5
	s_add_co_i32 s0, s9, -1
	s_delay_alu instid0(VALU_DEP_3) | instskip(NEXT) | instid1(VALU_DEP_3)
	v_add_nc_u32_e32 v6, 1, v7
	v_floor_f32_e32 v8, v15
	v_minmax_i32 v16, v7, s8, 0
	s_delay_alu instid0(VALU_DEP_3) | instskip(NEXT) | instid1(VALU_DEP_3)
	v_minmax_i32 v9, v6, s8, 0
	v_cvt_i32_f32_e32 v10, v8
	v_ashrrev_i32_e32 v5, 31, v4
	s_delay_alu instid0(VALU_DEP_4) | instskip(NEXT) | instid1(VALU_DEP_4)
	v_mad_nc_i64_i32 v[6:7], v16, s4, s[16:17]
	v_mad_nc_i64_i32 v[8:9], v9, s4, s[16:17]
	s_delay_alu instid0(VALU_DEP_4) | instskip(NEXT) | instid1(VALU_DEP_4)
	v_add_nc_u32_e32 v11, 1, v10
	v_mul_u64_e32 v[4:5], s[2:3], v[4:5]
	v_minmax_i32 v17, v10, s0, 0
	s_delay_alu instid0(VALU_DEP_3) | instskip(NEXT) | instid1(VALU_DEP_2)
	v_minmax_i32 v18, v11, s0, 0
	v_mad_nc_i64_i32 v[10:11], v17, s5, v[6:7]
	v_mad_nc_i64_i32 v[12:13], v17, s5, v[8:9]
	s_delay_alu instid0(VALU_DEP_3) | instskip(SKIP_1) | instid1(VALU_DEP_4)
	v_mad_nc_i64_i32 v[6:7], v18, s5, v[6:7]
	v_mad_nc_i64_i32 v[8:9], v18, s5, v[8:9]
	v_add_nc_u64_e32 v[10:11], v[10:11], v[2:3]
	s_delay_alu instid0(VALU_DEP_4) | instskip(NEXT) | instid1(VALU_DEP_4)
	v_add_nc_u64_e32 v[12:13], v[12:13], v[2:3]
	v_add_nc_u64_e32 v[6:7], v[6:7], v[2:3]
	s_delay_alu instid0(VALU_DEP_4) | instskip(NEXT) | instid1(VALU_DEP_4)
	v_add_nc_u64_e32 v[2:3], v[8:9], v[2:3]
	;; [unrolled: 3-line block ×3, first 2 shown]
	v_add_nc_u64_e32 v[6:7], v[6:7], v[4:5]
	s_delay_alu instid0(VALU_DEP_4)
	v_add_nc_u64_e32 v[2:3], v[2:3], v[4:5]
	s_clause 0x3
	global_load_b32 v12, v[8:9], off
	global_load_b32 v13, v[10:11], off
	;; [unrolled: 1-line block ×4, first 2 shown]
	s_wait_xcnt 0x0
	v_cvt_f32_u32_e32 v2, v17
	v_cvt_f32_u32_e32 v3, v16
	s_delay_alu instid0(VALU_DEP_1) | instskip(NEXT) | instid1(VALU_DEP_1)
	v_dual_sub_f32 v2, v15, v2 :: v_dual_sub_f32 v3, v14, v3
	v_minmax_num_f32 v2, v2, 1.0, 0
	s_delay_alu instid0(VALU_DEP_2) | instskip(NEXT) | instid1(VALU_DEP_1)
	v_minmax_num_f32 v6, v3, 1.0, 0
	v_sub_f32_e32 v7, 1.0, v6
	s_wait_loadcnt 0x3
	s_delay_alu instid0(VALU_DEP_1) | instskip(SKIP_1) | instid1(VALU_DEP_1)
	v_dual_sub_f32 v8, 1.0, v2 :: v_dual_mul_f32 v10, v12, v7
	s_wait_loadcnt 0x2
	v_dual_mov_b32 v11, v8 :: v_dual_mul_f32 v9, v13, v6
	s_wait_loadcnt 0x0
	v_pk_mul_f32 v[4:5], v[4:5], v[6:7]
	s_delay_alu instid0(VALU_DEP_2) | instskip(NEXT) | instid1(VALU_DEP_2)
	v_pk_mul_f32 v[6:7], v[8:9], v[10:11]
	v_pk_mul_f32 v[2:3], v[4:5], v[2:3] op_sel_hi:[1,0]
	s_delay_alu instid0(VALU_DEP_2) | instskip(NEXT) | instid1(VALU_DEP_1)
	v_add_f32_e32 v4, v6, v7
	v_add_f32_e32 v3, v3, v4
	s_delay_alu instid0(VALU_DEP_1)
	v_add_f32_e32 v2, v2, v3
	global_store_b32 v[0:1], v2, off
.LBB1_2:
	s_endpgm
	.section	.rodata,"a",@progbits
	.p2align	6, 0x0
	.amdhsa_kernel _ZL20upscale_f32_bilinearPKfPfiiiiiiiiiifffff
		.amdhsa_group_segment_fixed_size 0
		.amdhsa_private_segment_fixed_size 0
		.amdhsa_kernarg_size 336
		.amdhsa_user_sgpr_count 2
		.amdhsa_user_sgpr_dispatch_ptr 0
		.amdhsa_user_sgpr_queue_ptr 0
		.amdhsa_user_sgpr_kernarg_segment_ptr 1
		.amdhsa_user_sgpr_dispatch_id 0
		.amdhsa_user_sgpr_kernarg_preload_length 0
		.amdhsa_user_sgpr_kernarg_preload_offset 0
		.amdhsa_user_sgpr_private_segment_size 0
		.amdhsa_wavefront_size32 1
		.amdhsa_uses_dynamic_stack 0
		.amdhsa_enable_private_segment 0
		.amdhsa_system_sgpr_workgroup_id_x 1
		.amdhsa_system_sgpr_workgroup_id_y 0
		.amdhsa_system_sgpr_workgroup_id_z 0
		.amdhsa_system_sgpr_workgroup_info 0
		.amdhsa_system_vgpr_workitem_id 0
		.amdhsa_next_free_vgpr 25
		.amdhsa_next_free_sgpr 24
		.amdhsa_named_barrier_count 0
		.amdhsa_reserve_vcc 1
		.amdhsa_float_round_mode_32 0
		.amdhsa_float_round_mode_16_64 0
		.amdhsa_float_denorm_mode_32 3
		.amdhsa_float_denorm_mode_16_64 3
		.amdhsa_fp16_overflow 0
		.amdhsa_memory_ordered 1
		.amdhsa_forward_progress 1
		.amdhsa_inst_pref_size 14
		.amdhsa_round_robin_scheduling 0
		.amdhsa_exception_fp_ieee_invalid_op 0
		.amdhsa_exception_fp_denorm_src 0
		.amdhsa_exception_fp_ieee_div_zero 0
		.amdhsa_exception_fp_ieee_overflow 0
		.amdhsa_exception_fp_ieee_underflow 0
		.amdhsa_exception_fp_ieee_inexact 0
		.amdhsa_exception_int_div_zero 0
	.end_amdhsa_kernel
	.section	.text._ZL20upscale_f32_bilinearPKfPfiiiiiiiiiifffff,"axG",@progbits,_ZL20upscale_f32_bilinearPKfPfiiiiiiiiiifffff,comdat
.Lfunc_end1:
	.size	_ZL20upscale_f32_bilinearPKfPfiiiiiiiiiifffff, .Lfunc_end1-_ZL20upscale_f32_bilinearPKfPfiiiiiiiiiifffff
                                        ; -- End function
	.set _ZL20upscale_f32_bilinearPKfPfiiiiiiiiiifffff.num_vgpr, 25
	.set _ZL20upscale_f32_bilinearPKfPfiiiiiiiiiifffff.num_agpr, 0
	.set _ZL20upscale_f32_bilinearPKfPfiiiiiiiiiifffff.numbered_sgpr, 24
	.set _ZL20upscale_f32_bilinearPKfPfiiiiiiiiiifffff.num_named_barrier, 0
	.set _ZL20upscale_f32_bilinearPKfPfiiiiiiiiiifffff.private_seg_size, 0
	.set _ZL20upscale_f32_bilinearPKfPfiiiiiiiiiifffff.uses_vcc, 1
	.set _ZL20upscale_f32_bilinearPKfPfiiiiiiiiiifffff.uses_flat_scratch, 0
	.set _ZL20upscale_f32_bilinearPKfPfiiiiiiiiiifffff.has_dyn_sized_stack, 0
	.set _ZL20upscale_f32_bilinearPKfPfiiiiiiiiiifffff.has_recursion, 0
	.set _ZL20upscale_f32_bilinearPKfPfiiiiiiiiiifffff.has_indirect_call, 0
	.section	.AMDGPU.csdata,"",@progbits
; Kernel info:
; codeLenInByte = 1688
; TotalNumSgprs: 26
; NumVgprs: 25
; ScratchSize: 0
; MemoryBound: 0
; FloatMode: 240
; IeeeMode: 1
; LDSByteSize: 0 bytes/workgroup (compile time only)
; SGPRBlocks: 0
; VGPRBlocks: 1
; NumSGPRsForWavesPerEU: 26
; NumVGPRsForWavesPerEU: 25
; NamedBarCnt: 0
; Occupancy: 16
; WaveLimiterHint : 0
; COMPUTE_PGM_RSRC2:SCRATCH_EN: 0
; COMPUTE_PGM_RSRC2:USER_SGPR: 2
; COMPUTE_PGM_RSRC2:TRAP_HANDLER: 0
; COMPUTE_PGM_RSRC2:TGID_X_EN: 1
; COMPUTE_PGM_RSRC2:TGID_Y_EN: 0
; COMPUTE_PGM_RSRC2:TGID_Z_EN: 0
; COMPUTE_PGM_RSRC2:TIDIG_COMP_CNT: 0
	.section	.text._ZL30upscale_f32_bilinear_antialiasPKfPfiiiiiiiiiifffff,"axG",@progbits,_ZL30upscale_f32_bilinear_antialiasPKfPfiiiiiiiiiifffff,comdat
	.globl	_ZL30upscale_f32_bilinear_antialiasPKfPfiiiiiiiiiifffff ; -- Begin function _ZL30upscale_f32_bilinear_antialiasPKfPfiiiiiiiiiifffff
	.p2align	8
	.type	_ZL30upscale_f32_bilinear_antialiasPKfPfiiiiiiiiiifffff,@function
_ZL30upscale_f32_bilinear_antialiasPKfPfiiiiiiiiiifffff: ; @_ZL30upscale_f32_bilinear_antialiasPKfPfiiiiiiiiiifffff
; %bb.0:
	s_clause 0x2
	s_load_b32 s2, s[0:1], 0x5c
	s_load_b256 s[4:11], s[0:1], 0x10
	s_load_b128 s[20:23], s[0:1], 0x30
	s_bfe_u32 s3, ttmp6, 0x4000c
	s_and_b32 s12, ttmp6, 15
	s_add_co_i32 s3, s3, 1
	s_getreg_b32 s13, hwreg(HW_REG_IB_STS2, 6, 4)
	s_mul_i32 s3, ttmp9, s3
	v_mov_b32_e32 v1, 0
	s_add_co_i32 s12, s12, s3
	s_wait_kmcnt 0x0
	s_and_b32 s2, s2, 0xffff
	s_cmp_eq_u32 s13, 0
	s_mul_i32 s24, s11, s10
	s_cselect_b32 s3, ttmp9, s12
	s_delay_alu instid0(SALU_CYCLE_1) | instskip(SKIP_3) | instid1(SALU_CYCLE_1)
	v_mad_u32 v0, s3, s2, v0
	s_mul_i32 s3, s24, s20
	s_mov_b32 s2, exec_lo
	s_mul_i32 s12, s3, s21
	s_ashr_i32 s13, s12, 31
	s_delay_alu instid0(VALU_DEP_1) | instid1(SALU_CYCLE_1)
	v_cmpx_gt_i64_e64 s[12:13], v[0:1]
	s_cbranch_execz .LBB2_12
; %bb.1:
	s_abs_i32 s2, s10
	s_abs_i32 s11, s11
	s_cvt_f32_u32 s12, s2
	s_sub_co_i32 s13, 0, s2
	s_load_b128 s[16:19], s[0:1], 0x40
	s_delay_alu instid0(SALU_CYCLE_1) | instskip(SKIP_1) | instid1(TRANS32_DEP_1)
	v_rcp_iflag_f32_e32 v2, s12
	v_nop
	v_readfirstlane_b32 s12, v2
	v_sub_nc_u32_e32 v2, 0, v0
	s_mul_f32 s12, s12, 0x4f7ffffe
	s_delay_alu instid0(VALU_DEP_1) | instskip(NEXT) | instid1(SALU_CYCLE_2)
	v_max_i32_e32 v6, v0, v2
	s_cvt_u32_f32 s12, s12
	s_delay_alu instid0(SALU_CYCLE_3) | instskip(NEXT) | instid1(SALU_CYCLE_1)
	s_mul_i32 s13, s13, s12
	s_mul_hi_u32 s13, s12, s13
	s_delay_alu instid0(SALU_CYCLE_1) | instskip(NEXT) | instid1(SALU_CYCLE_1)
	s_add_co_i32 s12, s12, s13
	v_mul_hi_u32 v2, v6, s12
	s_cvt_f32_u32 s12, s11
	s_delay_alu instid0(SALU_CYCLE_3) | instskip(SKIP_1) | instid1(VALU_DEP_1)
	v_rcp_iflag_f32_e32 v7, s12
	s_sub_co_i32 s12, 0, s11
	v_mul_lo_u32 v3, v2, s2
	s_delay_alu instid0(VALU_DEP_1) | instskip(NEXT) | instid1(VALU_DEP_1)
	v_dual_add_nc_u32 v4, 1, v2 :: v_dual_sub_nc_u32 v3, v6, v3
	v_subrev_nc_u32_e32 v5, s2, v3
	v_cmp_le_u32_e32 vcc_lo, s2, v3
	s_delay_alu instid0(VALU_DEP_2) | instskip(NEXT) | instid1(VALU_DEP_1)
	v_dual_cndmask_b32 v2, v2, v4 :: v_dual_cndmask_b32 v3, v3, v5
	v_dual_add_nc_u32 v5, 1, v2 :: v_dual_bitop2_b32 v4, s10, v0 bitop3:0x14
	s_delay_alu instid0(VALU_DEP_2) | instskip(NEXT) | instid1(VALU_DEP_2)
	v_cmp_le_u32_e32 vcc_lo, s2, v3
	v_ashrrev_i32_e32 v4, 31, v4
	v_readfirstlane_b32 s2, v7
	s_delay_alu instid0(VALU_DEP_4) | instskip(SKIP_1) | instid1(VALU_DEP_1)
	v_cndmask_b32_e32 v2, v2, v5, vcc_lo
	s_mul_f32 s2, s2, 0x4f7ffffe
	v_xor_b32_e32 v2, v2, v4
	s_delay_alu instid0(SALU_CYCLE_2) | instskip(NEXT) | instid1(SALU_CYCLE_3)
	s_cvt_u32_f32 s2, s2
	s_mul_i32 s12, s12, s2
	s_delay_alu instid0(VALU_DEP_1) | instskip(SKIP_1) | instid1(SALU_CYCLE_1)
	v_sub_nc_u32_e32 v7, v2, v4
	s_mul_hi_u32 s12, s2, s12
	s_add_co_i32 s2, s2, s12
	s_load_b128 s[12:15], s[0:1], 0x0
	s_delay_alu instid0(VALU_DEP_1) | instskip(SKIP_2) | instid1(VALU_DEP_1)
	v_sub_nc_u32_e32 v2, 0, v7
	s_wait_xcnt 0x0
	s_ashr_i32 s1, s9, 31
	v_max_i32_e32 v2, v7, v2
	s_delay_alu instid0(VALU_DEP_1) | instskip(NEXT) | instid1(VALU_DEP_1)
	v_mul_hi_u32 v3, v2, s2
	v_mul_lo_u32 v3, v3, s11
	s_delay_alu instid0(VALU_DEP_1) | instskip(SKIP_1) | instid1(VALU_DEP_2)
	v_sub_nc_u32_e32 v2, v2, v3
	v_ashrrev_i32_e32 v4, 31, v7
	v_subrev_nc_u32_e32 v3, s11, v2
	v_cmp_le_u32_e32 vcc_lo, s11, v2
	s_delay_alu instid0(VALU_DEP_2) | instskip(NEXT) | instid1(VALU_DEP_1)
	v_cndmask_b32_e32 v2, v2, v3, vcc_lo
	v_subrev_nc_u32_e32 v3, s11, v2
	v_cmp_le_u32_e32 vcc_lo, s11, v2
	s_mov_b32 s11, exec_lo
	s_delay_alu instid0(VALU_DEP_2) | instskip(NEXT) | instid1(VALU_DEP_1)
	v_cndmask_b32_e32 v2, v2, v3, vcc_lo
	v_xor_b32_e32 v2, v2, v4
	s_delay_alu instid0(VALU_DEP_1) | instskip(SKIP_1) | instid1(VALU_DEP_2)
	v_sub_nc_u32_e32 v2, v2, v4
	v_div_scale_f32 v4, null, s23, s23, 1.0
	v_cvt_f32_i32_e32 v2, v2
	s_delay_alu instid0(VALU_DEP_2)
	v_rcp_f32_e32 v8, v4
	v_nop
	v_xor_b32_e32 v4, 0x80000000, v4
	s_wait_kmcnt 0x0
	v_add_f32_e32 v2, s18, v2
	s_delay_alu instid0(TRANS32_DEP_1) | instid1(VALU_DEP_2)
	v_fma_f32 v10, v4, v8, 1.0
	s_delay_alu instid0(VALU_DEP_2) | instskip(NEXT) | instid1(VALU_DEP_2)
	v_div_scale_f32 v3, null, s23, s23, v2
	v_fmac_f32_e32 v8, v10, v8
	s_delay_alu instid0(VALU_DEP_2) | instskip(SKIP_1) | instid1(TRANS32_DEP_1)
	v_rcp_f32_e32 v5, v3
	v_nop
	v_fma_f32 v9, -v3, v5, 1.0
	s_delay_alu instid0(VALU_DEP_1) | instskip(SKIP_1) | instid1(VALU_DEP_1)
	v_fmac_f32_e32 v5, v9, v5
	v_div_scale_f32 v9, s0, 1.0, s23, 1.0
	v_mul_f32_e32 v12, v9, v8
	s_delay_alu instid0(VALU_DEP_1) | instskip(SKIP_1) | instid1(VALU_DEP_1)
	v_fma_f32 v14, v4, v12, v9
	v_div_scale_f32 v11, vcc_lo, v2, s23, v2
	v_mul_f32_e32 v10, v11, v5
	s_delay_alu instid0(VALU_DEP_1) | instskip(NEXT) | instid1(VALU_DEP_1)
	v_fma_f32 v13, -v3, v10, v11
	v_dual_fmac_f32 v10, v13, v5 :: v_dual_fmac_f32 v12, v14, v8
	s_delay_alu instid0(VALU_DEP_1) | instskip(NEXT) | instid1(VALU_DEP_1)
	v_dual_fma_f32 v3, -v3, v10, v11 :: v_dual_fmac_f32 v9, v4, v12
	v_div_fmas_f32 v3, v3, v5, v10
	s_mov_b32 vcc_lo, s0
	s_mov_b32 s0, s9
	s_delay_alu instid0(VALU_DEP_2) | instskip(NEXT) | instid1(VALU_DEP_2)
	v_div_fmas_f32 v4, v9, v8, v12
	v_div_fixup_f32 v20, v3, s23, v2
	s_delay_alu instid0(VALU_DEP_2) | instskip(NEXT) | instid1(VALU_DEP_1)
	v_div_fixup_f32 v4, v4, s23, 1.0
	v_max_num_f32_e32 v14, 1.0, v4
	s_delay_alu instid0(VALU_DEP_1) | instskip(NEXT) | instid1(VALU_DEP_1)
	v_add_f32_e32 v3, v14, v20
	v_add_f32_e32 v3, s18, v3
	s_delay_alu instid0(VALU_DEP_1) | instskip(SKIP_1) | instid1(VALU_DEP_2)
	v_trunc_f32_e32 v3, v3
	v_sub_f32_e32 v2, v20, v14
	v_mul_f32_e64 v4, 0x2f800000, |v3|
	s_delay_alu instid0(VALU_DEP_1) | instskip(NEXT) | instid1(VALU_DEP_3)
	v_floor_f32_e32 v9, v4
	v_dual_ashrrev_i32 v4, 31, v3 :: v_dual_add_f32 v2, s18, v2
	s_delay_alu instid0(VALU_DEP_2) | instskip(SKIP_1) | instid1(VALU_DEP_3)
	v_fma_f32 v10, 0xcf800000, v9, |v3|
	v_cvt_u32_f32_e32 v11, v9
	v_trunc_f32_e32 v5, v2
	s_delay_alu instid0(VALU_DEP_3) | instskip(NEXT) | instid1(VALU_DEP_3)
	v_cvt_u32_f32_e32 v10, v10
	v_xor_b32_e32 v11, v11, v4
	s_delay_alu instid0(VALU_DEP_3) | instskip(NEXT) | instid1(VALU_DEP_3)
	v_mul_f32_e64 v2, 0x2f800000, |v5|
	v_xor_b32_e32 v10, v10, v4
	s_delay_alu instid0(VALU_DEP_2) | instskip(SKIP_1) | instid1(VALU_DEP_2)
	v_floor_f32_e32 v8, v2
	v_ashrrev_i32_e32 v2, 31, v5
	v_fma_f32 v5, 0xcf800000, v8, |v5|
	v_cvt_u32_f32_e32 v8, v8
	s_delay_alu instid0(VALU_DEP_3) | instskip(NEXT) | instid1(VALU_DEP_3)
	v_mov_b32_e32 v3, v2
	v_cvt_u32_f32_e32 v12, v5
	v_mov_b32_e32 v5, v4
	s_delay_alu instid0(VALU_DEP_4) | instskip(NEXT) | instid1(VALU_DEP_3)
	v_xor_b32_e32 v9, v8, v2
	v_xor_b32_e32 v8, v12, v2
	s_delay_alu instid0(VALU_DEP_3) | instskip(NEXT) | instid1(VALU_DEP_2)
	v_sub_nc_u64_e32 v[4:5], v[10:11], v[4:5]
	v_sub_nc_u64_e32 v[2:3], v[8:9], v[2:3]
	v_mov_b64_e32 v[8:9], 0
	s_delay_alu instid0(VALU_DEP_3) | instskip(NEXT) | instid1(VALU_DEP_3)
	v_min_i64 v[4:5], s[0:1], v[4:5]
	v_max_i64 v[2:3], v[2:3], 0
	s_delay_alu instid0(VALU_DEP_1)
	v_cmpx_lt_i64_e64 v[2:3], v[4:5]
	s_cbranch_execz .LBB2_11
; %bb.2:
	s_abs_i32 s9, s24
	v_div_scale_f32 v8, null, v14, v14, 1.0
	s_cvt_f32_u32 s0, s9
	v_div_scale_f32 v11, null, s22, s22, 1.0
	v_mul_lo_u32 v7, v7, s10
	s_delay_alu instid0(SALU_CYCLE_1) | instskip(SKIP_1) | instid1(VALU_DEP_3)
	v_rcp_iflag_f32_e32 v9, s0
	v_div_scale_f32 v10, s0, 1.0, v14, 1.0
	v_xor_b32_e32 v12, 0x80000000, v11
	v_rcp_f32_e32 v11, v11
	s_abs_i32 s10, s3
	s_sub_co_i32 s19, 0, s9
	s_delay_alu instid0(TRANS32_DEP_2)
	v_readfirstlane_b32 s1, v9
	v_xor_b32_e32 v9, 0x80000000, v8
	v_rcp_f32_e32 v8, v8
	s_cvt_f32_u32 s2, s10
	v_fma_f32 v18, v12, v11, 1.0
	s_mul_f32 s1, s1, 0x4f7ffffe
	s_delay_alu instid0(SALU_CYCLE_1) | instskip(NEXT) | instid1(TRANS32_DEP_2)
	v_rcp_iflag_f32_e32 v15, s2
	v_fma_f32 v16, v9, v8, 1.0
	s_delay_alu instid0(SALU_CYCLE_1) | instskip(NEXT) | instid1(VALU_DEP_1)
	s_cvt_u32_f32 s1, s1
	v_dual_fmac_f32 v11, v18, v11 :: v_dual_fmac_f32 v8, v16, v8
	v_sub_nc_u32_e32 v7, v0, v7
	s_delay_alu instid0(SALU_CYCLE_1) | instskip(NEXT) | instid1(SALU_CYCLE_1)
	s_mul_i32 s19, s19, s1
	s_mul_hi_u32 s2, s1, s19
	s_delay_alu instid0(VALU_DEP_2) | instskip(NEXT) | instid1(VALU_DEP_2)
	v_mul_f32_e32 v21, v10, v8
	v_cvt_f32_u32_e32 v7, v7
	s_add_co_i32 s1, s1, s2
	v_readfirstlane_b32 s2, v15
	v_mul_hi_u32 v19, v6, s1
	v_div_scale_f32 v15, s1, 1.0, s22, 1.0
	v_add_f32_e32 v7, s18, v7
	s_delay_alu instid0(VALU_DEP_4) | instskip(SKIP_2) | instid1(VALU_DEP_2)
	s_mul_f32 s2, s2, 0x4f7ffffe
	s_sub_co_i32 s19, 0, s10
	v_dual_ashrrev_i32 v24, 31, v0 :: v_dual_fma_f32 v25, v9, v21, v10
	v_div_scale_f32 v13, null, s22, s22, v7
	s_cvt_u32_f32 s2, s2
	v_dual_fmac_f32 v21, v25, v8 :: v_dual_add_nc_u32 v28, 1, v19
	v_rcp_f32_e32 v17, v13
	s_delay_alu instid0(SALU_CYCLE_1) | instskip(NEXT) | instid1(SALU_CYCLE_1)
	s_mul_i32 s19, s19, s2
	s_mul_hi_u32 s19, s2, s19
	s_delay_alu instid0(VALU_DEP_1) | instskip(SKIP_1) | instid1(TRANS32_DEP_1)
	v_fmac_f32_e32 v10, v9, v21
	s_add_co_i32 s19, s2, s19
	v_fma_f32 v16, -v13, v17, 1.0
	s_delay_alu instid0(VALU_DEP_1) | instskip(SKIP_2) | instid1(VALU_DEP_1)
	v_fmac_f32_e32 v17, v16, v17
	v_mul_lo_u32 v16, v19, s9
	v_div_scale_f32 v18, vcc_lo, v7, s22, v7
	v_dual_mul_f32 v22, v15, v11 :: v_dual_mul_f32 v23, v18, v17
	s_delay_alu instid0(VALU_DEP_1) | instskip(NEXT) | instid1(VALU_DEP_4)
	v_dual_fma_f32 v26, v12, v22, v15 :: v_dual_fma_f32 v27, -v13, v23, v18
	v_sub_nc_u32_e32 v16, v6, v16
	s_delay_alu instid0(VALU_DEP_2) | instskip(NEXT) | instid1(VALU_DEP_2)
	v_dual_fmac_f32 v22, v26, v11 :: v_dual_fmac_f32 v23, v27, v17
	v_subrev_nc_u32_e32 v27, s9, v16
	v_cmp_le_u32_e64 s2, s9, v16
	s_delay_alu instid0(VALU_DEP_3) | instskip(SKIP_1) | instid1(VALU_DEP_3)
	v_fma_f32 v13, -v13, v23, v18
	v_mul_hi_u32 v18, v6, s19
	v_dual_cndmask_b32 v19, v19, v28, s2 :: v_dual_cndmask_b32 v16, v16, v27, s2
	s_ashr_i32 s2, s24, 31
	s_abs_i32 s19, s20
	s_delay_alu instid0(VALU_DEP_1) | instskip(NEXT) | instid1(VALU_DEP_2)
	v_dual_add_nc_u32 v25, 1, v19 :: v_dual_bitop2_b32 v27, s2, v24 bitop3:0x14
	v_cmp_le_u32_e64 s2, s9, v16
	s_cvt_f32_u32 s20, s19
	v_div_fmas_f32 v13, v13, v17, v23
	s_mov_b32 vcc_lo, s0
	v_mul_lo_u32 v9, v18, s10
	v_cndmask_b32_e64 v16, v19, v25, s2
	v_rcp_iflag_f32_e32 v19, s20
	v_fmac_f32_e32 v15, v12, v22
	s_ashr_i32 s9, s8, 31
	s_delay_alu instid0(VALU_DEP_2) | instskip(NEXT) | instid1(TRANS32_DEP_1)
	v_xor_b32_e32 v16, v16, v27
	v_readfirstlane_b32 s2, v19
	v_div_fmas_f32 v19, v10, v8, v21
	s_delay_alu instid0(VALU_DEP_3)
	v_sub_nc_u32_e32 v8, v16, v27
	s_mov_b32 vcc_lo, s1
	v_sub_nc_u32_e32 v6, v6, v9
	s_mul_f32 s0, s2, 0x4f7ffffe
	v_div_fmas_f32 v10, v15, v11, v22
	v_dual_add_nc_u32 v9, 1, v18 :: v_dual_sub_nc_u32 v11, 0, v8
	s_delay_alu instid0(SALU_CYCLE_1)
	s_cvt_u32_f32 s0, s0
	s_sub_co_i32 s1, 0, s19
	v_cmp_le_u32_e32 vcc_lo, s10, v6
	v_subrev_nc_u32_e32 v12, s10, v6
	s_mul_i32 s1, s1, s0
	v_max_i32_e32 v11, v8, v11
	s_mul_hi_u32 s1, s0, s1
	v_cndmask_b32_e32 v9, v18, v9, vcc_lo
	s_add_co_i32 s0, s0, s1
	v_div_fixup_f32 v10, v10, s22, 1.0
	v_mul_hi_u32 v15, v11, s0
	s_delay_alu instid0(VALU_DEP_3) | instskip(SKIP_3) | instid1(VALU_DEP_3)
	v_dual_cndmask_b32 v6, v6, v12, vcc_lo :: v_dual_add_nc_u32 v12, 1, v9
	s_ashr_i32 s0, s3, 31
	v_div_fixup_f32 v21, v13, s22, v7
	v_dual_max_num_f32 v18, 1.0, v10 :: v_dual_bitop2_b32 v7, s0, v24 bitop3:0x14
	v_cmp_le_u32_e32 vcc_lo, s10, v6
	s_ashr_i32 s3, s5, 31
	s_mov_b32 s2, s5
	s_ashr_i32 s5, s4, 31
	v_sub_f32_e32 v10, v21, v18
	v_cndmask_b32_e32 v6, v9, v12, vcc_lo
	v_mul_lo_u32 v9, v15, s19
	s_delay_alu instid0(VALU_DEP_1) | instskip(NEXT) | instid1(VALU_DEP_1)
	v_dual_sub_nc_u32 v9, v11, v9 :: v_dual_bitop2_b32 v6, v6, v7 bitop3:0x14
	v_dual_add_f32 v7, s18, v10 :: v_dual_sub_nc_u32 v6, v6, v7
	v_div_scale_f32 v10, null, v18, v18, 1.0
	s_delay_alu instid0(VALU_DEP_3) | instskip(NEXT) | instid1(VALU_DEP_3)
	v_cmp_le_u32_e32 vcc_lo, s19, v9
	v_cvt_f32_i32_e32 v15, v6
	s_delay_alu instid0(VALU_DEP_4)
	v_trunc_f32_e32 v6, v7
	v_subrev_nc_u32_e32 v7, s19, v9
	v_ashrrev_i32_e32 v8, 31, v8
	v_rcp_f32_e32 v22, v10
	v_nop
	v_xor_b32_e32 v10, 0x80000000, v10
	v_mul_f32_e64 v11, 0x2f800000, |v6|
	v_cndmask_b32_e32 v7, v9, v7, vcc_lo
	v_div_scale_f32 v17, null, s17, s17, v15
	v_div_scale_f32 v16, vcc_lo, 1.0, v18, 1.0
	s_delay_alu instid0(VALU_DEP_4) | instskip(NEXT) | instid1(VALU_DEP_4)
	v_floor_f32_e32 v9, v11
	v_subrev_nc_u32_e32 v11, s19, v7
	v_cmp_le_u32_e64 s0, s19, v7
	v_add_f32_e32 v12, v18, v21
	v_fma_f32 v23, v10, v22, 1.0
	v_rcp_f32_e32 v24, v17
	s_delay_alu instid0(VALU_DEP_3)
	v_cndmask_b32_e64 v7, v7, v11, s0
	v_fma_f32 v11, 0xcf800000, v9, |v6|
	v_ashrrev_i32_e32 v6, 31, v6
	v_fmac_f32_e32 v22, v23, v22
	v_cvt_u32_f32_e32 v9, v9
	v_xor_b32_e32 v13, v7, v8
	v_cvt_u32_f32_e32 v11, v11
	v_div_scale_f32 v29, s0, v15, s17, v15
	s_delay_alu instid0(VALU_DEP_4) | instskip(NEXT) | instid1(VALU_DEP_3)
	v_dual_mov_b32 v7, v6 :: v_dual_bitop2_b32 v9, v9, v6 bitop3:0x14
	v_dual_sub_nc_u32 v13, v13, v8 :: v_dual_bitop2_b32 v8, v11, v6 bitop3:0x14
	v_add_f32_e32 v11, s18, v12
	v_fma_f32 v12, -v17, v24, 1.0
	s_delay_alu instid0(VALU_DEP_3) | instskip(NEXT) | instid1(VALU_DEP_4)
	v_cvt_f32_i32_e32 v23, v13
	v_sub_nc_u64_e32 v[6:7], v[8:9], v[6:7]
	s_delay_alu instid0(VALU_DEP_4) | instskip(SKIP_1) | instid1(VALU_DEP_4)
	v_trunc_f32_e32 v11, v11
	v_mul_u64_e32 v[8:9], s[2:3], v[2:3]
	v_div_scale_f32 v25, null, s16, s16, v23
	s_delay_alu instid0(VALU_DEP_3) | instskip(SKIP_2) | instid1(VALU_DEP_4)
	v_mul_f32_e64 v13, 0x2f800000, |v11|
	v_max_i64 v[6:7], v[6:7], 0
	v_div_scale_f32 v31, s1, v23, s16, v23
	v_rcp_f32_e32 v27, v25
	v_fmac_f32_e32 v24, v12, v24
	v_floor_f32_e32 v12, v13
	s_delay_alu instid0(TRANS32_DEP_1) | instskip(NEXT) | instid1(VALU_DEP_2)
	v_fma_f32 v13, -v25, v27, 1.0
	v_fma_f32 v30, 0xcf800000, v12, |v11|
	v_cvt_u32_f32_e32 v12, v12
	s_delay_alu instid0(VALU_DEP_3) | instskip(NEXT) | instid1(VALU_DEP_3)
	v_dual_fmac_f32 v27, v13, v27 :: v_dual_mul_f32 v26, v16, v22
	v_cvt_u32_f32_e32 v30, v30
	s_delay_alu instid0(VALU_DEP_2) | instskip(NEXT) | instid1(VALU_DEP_1)
	v_fma_f32 v28, v10, v26, v16
	v_dual_fmac_f32 v26, v28, v22 :: v_dual_mul_f32 v28, v29, v24
	s_delay_alu instid0(VALU_DEP_1) | instskip(SKIP_2) | instid1(VALU_DEP_3)
	v_dual_fma_f32 v13, -v17, v28, v29 :: v_dual_fmac_f32 v16, v10, v26
	v_ashrrev_i32_e32 v10, 31, v11
	v_mad_nc_u64_u32 v[8:9], v6, s4, v[8:9]
	v_dual_fmac_f32 v28, v13, v24 :: v_dual_mul_f32 v32, v31, v27
	s_delay_alu instid0(VALU_DEP_3) | instskip(NEXT) | instid1(VALU_DEP_2)
	v_dual_mov_b32 v11, v10 :: v_dual_bitop2_b32 v13, v12, v10 bitop3:0x14
	v_dual_fma_f32 v17, -v17, v28, v29 :: v_dual_bitop2_b32 v12, v30, v10 bitop3:0x14
	v_div_fmas_f32 v26, v16, v22, v26
	s_mov_b32 vcc_lo, s0
	v_fma_f32 v30, -v25, v32, v31
	s_delay_alu instid0(VALU_DEP_3)
	v_sub_nc_u64_e32 v[10:11], v[12:13], v[10:11]
	v_div_fmas_f32 v16, v17, v24, v28
	s_mov_b32 vcc_lo, s1
	v_mad_u32 v9, v7, s4, v9
	v_div_fixup_f32 v22, v19, v14, 1.0
	s_mov_b32 s1, 0
	v_div_fixup_f32 v12, v16, s17, v15
	v_min_i64 v[10:11], s[8:9], v[10:11]
	s_delay_alu instid0(VALU_DEP_2) | instskip(SKIP_1) | instid1(VALU_DEP_2)
	v_cvt_i32_f32_e32 v12, v12
	v_mad_u32 v9, v6, s5, v9
	v_mul_lo_u32 v12, s7, v12
	v_fmac_f32_e32 v32, v30, v27
	s_delay_alu instid0(VALU_DEP_1) | instskip(NEXT) | instid1(VALU_DEP_1)
	v_fma_f32 v17, -v25, v32, v31
	v_div_fmas_f32 v13, v17, v27, v32
	s_delay_alu instid0(VALU_DEP_1) | instskip(SKIP_1) | instid1(VALU_DEP_2)
	v_div_fixup_f32 v13, v13, s16, v23
	v_div_fixup_f32 v23, v26, v18, 1.0
	v_cvt_i32_f32_e32 v13, v13
	v_cmp_lt_i64_e32 vcc_lo, v[6:7], v[10:11]
	s_delay_alu instid0(VALU_DEP_2) | instskip(SKIP_1) | instid1(VALU_DEP_1)
	v_mul_lo_u32 v16, s6, v13
	v_ashrrev_i32_e32 v13, 31, v12
	v_add_nc_u64_e32 v[8:9], v[8:9], v[12:13]
	s_delay_alu instid0(VALU_DEP_3) | instskip(NEXT) | instid1(VALU_DEP_1)
	v_ashrrev_i32_e32 v17, 31, v16
	v_add_nc_u64_e32 v[8:9], v[8:9], v[16:17]
	s_delay_alu instid0(VALU_DEP_1)
	v_add_nc_u64_e32 v[12:13], s[12:13], v[8:9]
	v_mov_b64_e32 v[8:9], 0
	s_branch .LBB2_5
.LBB2_3:                                ;   in Loop: Header=BB2_5 Depth=1
	s_or_b32 exec_lo, exec_lo, s7
.LBB2_4:                                ;   in Loop: Header=BB2_5 Depth=1
	s_delay_alu instid0(SALU_CYCLE_1) | instskip(SKIP_2) | instid1(VALU_DEP_2)
	s_or_b32 exec_lo, exec_lo, s6
	v_add_nc_u64_e32 v[2:3], 1, v[2:3]
	v_add_nc_u64_e32 v[12:13], s[2:3], v[12:13]
	v_cmp_ge_i64_e64 s0, v[2:3], v[4:5]
	s_or_b32 s1, s0, s1
	s_delay_alu instid0(SALU_CYCLE_1)
	s_and_not1_b32 exec_lo, exec_lo, s1
	s_cbranch_execz .LBB2_10
.LBB2_5:                                ; =>This Loop Header: Depth=1
                                        ;     Child Loop BB2_8 Depth 2
	s_and_saveexec_b32 s6, vcc_lo
	s_cbranch_execz .LBB2_4
; %bb.6:                                ;   in Loop: Header=BB2_5 Depth=1
	v_clz_i32_u32_e32 v14, v3
	s_mov_b32 s7, 0
	s_delay_alu instid0(VALU_DEP_1) | instskip(NEXT) | instid1(VALU_DEP_1)
	v_min_u32_e32 v16, 32, v14
	v_lshlrev_b64_e32 v[14:15], v16, v[2:3]
	s_delay_alu instid0(VALU_DEP_1) | instskip(NEXT) | instid1(VALU_DEP_1)
	v_min_u32_e32 v14, 1, v14
	v_dual_sub_nc_u32 v15, 32, v16 :: v_dual_bitop2_b32 v14, v15, v14 bitop3:0x54
	s_delay_alu instid0(VALU_DEP_1) | instskip(NEXT) | instid1(VALU_DEP_1)
	v_cvt_f32_u32_e32 v14, v14
	v_ldexp_f32 v14, v14, v15
	s_delay_alu instid0(VALU_DEP_1) | instskip(NEXT) | instid1(VALU_DEP_1)
	v_sub_f32_e32 v14, v14, v20
	v_add_f32_e32 v14, s18, v14
	s_delay_alu instid0(VALU_DEP_1) | instskip(NEXT) | instid1(VALU_DEP_1)
	v_mul_f32_e32 v14, v22, v14
	v_sub_f32_e64 v16, 1.0, |v14|
	v_mov_b64_e32 v[14:15], v[12:13]
	s_delay_alu instid0(VALU_DEP_2)
	v_max_num_f32_e32 v24, 0, v16
	v_mov_b64_e32 v[16:17], v[6:7]
	s_branch .LBB2_8
.LBB2_7:                                ;   in Loop: Header=BB2_8 Depth=2
	s_or_b32 exec_lo, exec_lo, s8
	v_add_nc_u64_e32 v[16:17], 1, v[16:17]
	v_add_nc_u64_e32 v[14:15], s[4:5], v[14:15]
	s_delay_alu instid0(VALU_DEP_2) | instskip(SKIP_1) | instid1(SALU_CYCLE_1)
	v_cmp_ge_i64_e64 s0, v[16:17], v[10:11]
	s_or_b32 s7, s0, s7
	s_and_not1_b32 exec_lo, exec_lo, s7
	s_cbranch_execz .LBB2_3
.LBB2_8:                                ;   Parent Loop BB2_5 Depth=1
                                        ; =>  This Inner Loop Header: Depth=2
	s_delay_alu instid0(VALU_DEP_1) | instskip(SKIP_1) | instid1(VALU_DEP_1)
	v_clz_i32_u32_e32 v18, v17
	s_mov_b32 s8, exec_lo
	v_min_u32_e32 v25, 32, v18
	s_delay_alu instid0(VALU_DEP_1) | instskip(NEXT) | instid1(VALU_DEP_1)
	v_lshlrev_b64_e32 v[18:19], v25, v[16:17]
	v_min_u32_e32 v18, 1, v18
	s_delay_alu instid0(VALU_DEP_1) | instskip(NEXT) | instid1(VALU_DEP_1)
	v_dual_sub_nc_u32 v19, 32, v25 :: v_dual_bitop2_b32 v18, v19, v18 bitop3:0x54
	v_cvt_f32_u32_e32 v18, v18
	s_delay_alu instid0(VALU_DEP_1) | instskip(NEXT) | instid1(VALU_DEP_1)
	v_ldexp_f32 v18, v18, v19
	v_sub_f32_e32 v18, v18, v21
	s_delay_alu instid0(VALU_DEP_1) | instskip(NEXT) | instid1(VALU_DEP_1)
	v_add_f32_e32 v18, s18, v18
	v_mul_f32_e32 v18, v23, v18
	s_delay_alu instid0(VALU_DEP_1) | instskip(NEXT) | instid1(VALU_DEP_1)
	v_sub_f32_e64 v18, 1.0, |v18|
	v_max_num_f32_e32 v18, 0, v18
	s_delay_alu instid0(VALU_DEP_1) | instskip(NEXT) | instid1(VALU_DEP_1)
	v_mul_f32_e32 v18, v24, v18
	v_cmpx_nge_f32_e32 0, v18
	s_cbranch_execz .LBB2_7
; %bb.9:                                ;   in Loop: Header=BB2_8 Depth=2
	global_load_b32 v19, v[14:15], off
	s_wait_loadcnt 0x0
	v_mul_f32_e32 v19, v18, v19
	s_delay_alu instid0(VALU_DEP_1)
	v_pk_add_f32 v[8:9], v[8:9], v[18:19]
	s_branch .LBB2_7
.LBB2_10:
	s_or_b32 exec_lo, exec_lo, s1
.LBB2_11:
	s_delay_alu instid0(SALU_CYCLE_1) | instskip(NEXT) | instid1(VALU_DEP_4)
	s_or_b32 exec_lo, exec_lo, s11
	v_div_scale_f32 v2, null, v8, v8, v9
	v_div_scale_f32 v5, vcc_lo, v9, v8, v9
	v_lshl_add_u64 v[0:1], v[0:1], 2, s[14:15]
	s_delay_alu instid0(VALU_DEP_3) | instskip(SKIP_1) | instid1(TRANS32_DEP_1)
	v_rcp_f32_e32 v3, v2
	v_nop
	v_fma_f32 v4, -v2, v3, 1.0
	s_delay_alu instid0(VALU_DEP_1) | instskip(NEXT) | instid1(VALU_DEP_1)
	v_fmac_f32_e32 v3, v4, v3
	v_mul_f32_e32 v4, v5, v3
	s_delay_alu instid0(VALU_DEP_1) | instskip(NEXT) | instid1(VALU_DEP_1)
	v_fma_f32 v6, -v2, v4, v5
	v_fmac_f32_e32 v4, v6, v3
	s_delay_alu instid0(VALU_DEP_1) | instskip(NEXT) | instid1(VALU_DEP_1)
	v_fma_f32 v2, -v2, v4, v5
	v_div_fmas_f32 v2, v2, v3, v4
	v_cmp_lt_f32_e32 vcc_lo, 0, v8
	s_delay_alu instid0(VALU_DEP_2) | instskip(NEXT) | instid1(VALU_DEP_1)
	v_div_fixup_f32 v2, v2, v8, v9
	v_cndmask_b32_e32 v2, v9, v2, vcc_lo
	global_store_b32 v[0:1], v2, off
.LBB2_12:
	s_endpgm
	.section	.rodata,"a",@progbits
	.p2align	6, 0x0
	.amdhsa_kernel _ZL30upscale_f32_bilinear_antialiasPKfPfiiiiiiiiiifffff
		.amdhsa_group_segment_fixed_size 0
		.amdhsa_private_segment_fixed_size 0
		.amdhsa_kernarg_size 336
		.amdhsa_user_sgpr_count 2
		.amdhsa_user_sgpr_dispatch_ptr 0
		.amdhsa_user_sgpr_queue_ptr 0
		.amdhsa_user_sgpr_kernarg_segment_ptr 1
		.amdhsa_user_sgpr_dispatch_id 0
		.amdhsa_user_sgpr_kernarg_preload_length 0
		.amdhsa_user_sgpr_kernarg_preload_offset 0
		.amdhsa_user_sgpr_private_segment_size 0
		.amdhsa_wavefront_size32 1
		.amdhsa_uses_dynamic_stack 0
		.amdhsa_enable_private_segment 0
		.amdhsa_system_sgpr_workgroup_id_x 1
		.amdhsa_system_sgpr_workgroup_id_y 0
		.amdhsa_system_sgpr_workgroup_id_z 0
		.amdhsa_system_sgpr_workgroup_info 0
		.amdhsa_system_vgpr_workitem_id 0
		.amdhsa_next_free_vgpr 33
		.amdhsa_next_free_sgpr 25
		.amdhsa_named_barrier_count 0
		.amdhsa_reserve_vcc 1
		.amdhsa_float_round_mode_32 0
		.amdhsa_float_round_mode_16_64 0
		.amdhsa_float_denorm_mode_32 3
		.amdhsa_float_denorm_mode_16_64 3
		.amdhsa_fp16_overflow 0
		.amdhsa_memory_ordered 1
		.amdhsa_forward_progress 1
		.amdhsa_inst_pref_size 21
		.amdhsa_round_robin_scheduling 0
		.amdhsa_exception_fp_ieee_invalid_op 0
		.amdhsa_exception_fp_denorm_src 0
		.amdhsa_exception_fp_ieee_div_zero 0
		.amdhsa_exception_fp_ieee_overflow 0
		.amdhsa_exception_fp_ieee_underflow 0
		.amdhsa_exception_fp_ieee_inexact 0
		.amdhsa_exception_int_div_zero 0
	.end_amdhsa_kernel
	.section	.text._ZL30upscale_f32_bilinear_antialiasPKfPfiiiiiiiiiifffff,"axG",@progbits,_ZL30upscale_f32_bilinear_antialiasPKfPfiiiiiiiiiifffff,comdat
.Lfunc_end2:
	.size	_ZL30upscale_f32_bilinear_antialiasPKfPfiiiiiiiiiifffff, .Lfunc_end2-_ZL30upscale_f32_bilinear_antialiasPKfPfiiiiiiiiiifffff
                                        ; -- End function
	.set _ZL30upscale_f32_bilinear_antialiasPKfPfiiiiiiiiiifffff.num_vgpr, 33
	.set _ZL30upscale_f32_bilinear_antialiasPKfPfiiiiiiiiiifffff.num_agpr, 0
	.set _ZL30upscale_f32_bilinear_antialiasPKfPfiiiiiiiiiifffff.numbered_sgpr, 25
	.set _ZL30upscale_f32_bilinear_antialiasPKfPfiiiiiiiiiifffff.num_named_barrier, 0
	.set _ZL30upscale_f32_bilinear_antialiasPKfPfiiiiiiiiiifffff.private_seg_size, 0
	.set _ZL30upscale_f32_bilinear_antialiasPKfPfiiiiiiiiiifffff.uses_vcc, 1
	.set _ZL30upscale_f32_bilinear_antialiasPKfPfiiiiiiiiiifffff.uses_flat_scratch, 0
	.set _ZL30upscale_f32_bilinear_antialiasPKfPfiiiiiiiiiifffff.has_dyn_sized_stack, 0
	.set _ZL30upscale_f32_bilinear_antialiasPKfPfiiiiiiiiiifffff.has_recursion, 0
	.set _ZL30upscale_f32_bilinear_antialiasPKfPfiiiiiiiiiifffff.has_indirect_call, 0
	.section	.AMDGPU.csdata,"",@progbits
; Kernel info:
; codeLenInByte = 2688
; TotalNumSgprs: 27
; NumVgprs: 33
; ScratchSize: 0
; MemoryBound: 0
; FloatMode: 240
; IeeeMode: 1
; LDSByteSize: 0 bytes/workgroup (compile time only)
; SGPRBlocks: 0
; VGPRBlocks: 2
; NumSGPRsForWavesPerEU: 27
; NumVGPRsForWavesPerEU: 33
; NamedBarCnt: 0
; Occupancy: 16
; WaveLimiterHint : 0
; COMPUTE_PGM_RSRC2:SCRATCH_EN: 0
; COMPUTE_PGM_RSRC2:USER_SGPR: 2
; COMPUTE_PGM_RSRC2:TRAP_HANDLER: 0
; COMPUTE_PGM_RSRC2:TGID_X_EN: 1
; COMPUTE_PGM_RSRC2:TGID_Y_EN: 0
; COMPUTE_PGM_RSRC2:TGID_Z_EN: 0
; COMPUTE_PGM_RSRC2:TIDIG_COMP_CNT: 0
	.section	.text._ZL19upscale_f32_bicubicPKfPfiiiiiiiiiifffff,"axG",@progbits,_ZL19upscale_f32_bicubicPKfPfiiiiiiiiiifffff,comdat
	.globl	_ZL19upscale_f32_bicubicPKfPfiiiiiiiiiifffff ; -- Begin function _ZL19upscale_f32_bicubicPKfPfiiiiiiiiiifffff
	.p2align	8
	.type	_ZL19upscale_f32_bicubicPKfPfiiiiiiiiiifffff,@function
_ZL19upscale_f32_bicubicPKfPfiiiiiiiiiifffff: ; @_ZL19upscale_f32_bicubicPKfPfiiiiiiiiiifffff
; %bb.0:
	s_clause 0x2
	s_load_b32 s2, s[0:1], 0x5c
	s_load_b256 s[4:11], s[0:1], 0x10
	s_load_b128 s[16:19], s[0:1], 0x30
	s_bfe_u32 s3, ttmp6, 0x4000c
	s_and_b32 s12, ttmp6, 15
	s_add_co_i32 s3, s3, 1
	s_getreg_b32 s13, hwreg(HW_REG_IB_STS2, 6, 4)
	s_mul_i32 s3, ttmp9, s3
	v_mov_b32_e32 v1, 0
	s_add_co_i32 s12, s12, s3
	s_wait_kmcnt 0x0
	s_and_b32 s2, s2, 0xffff
	s_cmp_eq_u32 s13, 0
	s_cselect_b32 s3, ttmp9, s12
	s_delay_alu instid0(SALU_CYCLE_1) | instskip(SKIP_1) | instid1(SALU_CYCLE_1)
	v_mad_u32 v0, s3, s2, v0
	s_mul_i32 s2, s11, s10
	s_mul_i32 s3, s2, s16
	s_delay_alu instid0(SALU_CYCLE_1) | instskip(NEXT) | instid1(SALU_CYCLE_1)
	s_mul_i32 s12, s3, s17
	s_ashr_i32 s13, s12, 31
	s_delay_alu instid0(VALU_DEP_1) | instid1(SALU_CYCLE_1)
	v_cmp_gt_i64_e32 vcc_lo, s[12:13], v[0:1]
	s_and_saveexec_b32 s12, vcc_lo
	s_cbranch_execz .LBB3_2
; %bb.1:
	s_abs_i32 s12, s10
	s_abs_i32 s13, s2
	s_cvt_f32_u32 s14, s12
	s_cvt_f32_u32 s15, s13
	s_sub_co_i32 s20, 0, s12
	s_sub_co_i32 s21, 0, s13
	v_rcp_iflag_f32_e32 v2, s14
	v_rcp_iflag_f32_e32 v3, s15
	s_abs_i32 s17, s3
	s_abs_i32 s11, s11
	s_cvt_f32_u32 s22, s17
	s_abs_i32 s16, s16
	s_ashr_i32 s2, s2, 31
	v_readfirstlane_b32 s14, v2
	v_readfirstlane_b32 s15, v3
	v_dual_sub_nc_u32 v2, 0, v0 :: v_dual_bitop2_b32 v6, s10, v0 bitop3:0x14
	v_rcp_iflag_f32_e32 v5, s22
	s_mul_f32 s14, s14, 0x4f7ffffe
	s_mul_f32 s15, s15, 0x4f7ffffe
	s_delay_alu instid0(VALU_DEP_1) | instskip(NEXT) | instid1(SALU_CYCLE_1)
	v_dual_ashrrev_i32 v7, 31, v0 :: v_dual_max_i32 v2, v0, v2
	s_cvt_u32_f32 s14, s14
	s_delay_alu instid0(SALU_CYCLE_1)
	s_cvt_u32_f32 s15, s15
	v_ashrrev_i32_e32 v6, 31, v6
	v_mov_b64_e32 v[36:37], 0x404000003f800000
	s_mul_i32 s20, s20, s14
	s_mul_i32 s21, s21, s15
	s_mul_hi_u32 s20, s14, s20
	s_mul_hi_u32 s21, s15, s21
	s_add_co_i32 s14, s14, s20
	s_add_co_i32 s15, s15, s21
	v_mul_hi_u32 v3, v2, s14
	v_mul_hi_u32 v4, v2, s15
	s_cvt_f32_u32 s14, s11
	s_cvt_f32_u32 s15, s16
	v_xor_b32_e32 v11, s2, v7
	s_delay_alu instid0(SALU_CYCLE_1)
	v_rcp_iflag_f32_e32 v8, s14
	v_nop
	v_readfirstlane_b32 s14, v5
	v_rcp_iflag_f32_e32 v10, s15
	s_sub_co_i32 s15, 0, s17
	v_mul_lo_u32 v5, v3, s12
	v_mul_lo_u32 v9, v4, s13
	v_readfirstlane_b32 s20, v8
	s_mul_f32 s14, s14, 0x4f7ffffe
	s_delay_alu instid0(TRANS32_DEP_1) | instskip(SKIP_1) | instid1(SALU_CYCLE_1)
	v_readfirstlane_b32 s21, v10
	v_add_nc_u32_e32 v10, 1, v3
	s_cvt_u32_f32 s14, s14
	v_sub_nc_u32_e32 v5, v2, v5
	v_dual_sub_nc_u32 v8, v2, v9 :: v_dual_add_nc_u32 v9, 1, v4
	s_delay_alu instid0(SALU_CYCLE_1) | instskip(NEXT) | instid1(SALU_CYCLE_1)
	s_mul_i32 s15, s15, s14
	s_mul_hi_u32 s15, s14, s15
	s_delay_alu instid0(VALU_DEP_1)
	v_subrev_nc_u32_e32 v13, s13, v8
	v_cmp_le_u32_e32 vcc_lo, s13, v8
	v_cmp_le_u32_e64 s2, s12, v5
	v_subrev_nc_u32_e32 v12, s12, v5
	s_add_co_i32 s14, s14, s15
	v_dual_cndmask_b32 v4, v4, v9, vcc_lo :: v_dual_cndmask_b32 v3, v3, v10, s2
	s_delay_alu instid0(VALU_DEP_2) | instskip(SKIP_1) | instid1(VALU_DEP_2)
	v_dual_cndmask_b32 v8, v8, v13, vcc_lo :: v_dual_cndmask_b32 v5, v5, v12, s2
	s_mul_f32 s2, s20, 0x4f7ffffe
	v_dual_add_nc_u32 v9, 1, v4 :: v_dual_add_nc_u32 v10, 1, v3
	s_delay_alu instid0(VALU_DEP_2)
	v_cmp_le_u32_e32 vcc_lo, s13, v8
	s_mul_f32 s13, s21, 0x4f7ffffe
	s_cvt_u32_f32 s2, s2
	s_load_b128 s[20:23], s[0:1], 0x40
	v_cndmask_b32_e32 v4, v4, v9, vcc_lo
	v_cmp_le_u32_e32 vcc_lo, s12, v5
	v_mul_hi_u32 v5, v2, s14
	s_cvt_u32_f32 s13, s13
	s_sub_co_i32 s14, 0, s16
	s_sub_co_i32 s12, 0, s11
	v_cndmask_b32_e32 v3, v3, v10, vcc_lo
	s_mul_i32 s14, s14, s13
	s_mul_i32 s12, s12, s2
	s_mul_hi_u32 s14, s13, s14
	s_mul_hi_u32 s12, s2, s12
	v_xor_b32_e32 v3, v3, v6
	v_xor_b32_e32 v4, v4, v11
	v_mul_lo_u32 v8, v5, s17
	s_add_co_i32 s13, s13, s14
	s_add_co_i32 s2, s2, s12
	s_delay_alu instid0(VALU_DEP_2) | instskip(NEXT) | instid1(VALU_DEP_1)
	v_dual_sub_nc_u32 v3, v3, v6 :: v_dual_sub_nc_u32 v4, v4, v11
	v_dual_sub_nc_u32 v9, 0, v3 :: v_dual_sub_nc_u32 v6, 0, v4
	s_delay_alu instid0(VALU_DEP_1) | instskip(NEXT) | instid1(VALU_DEP_1)
	v_dual_sub_nc_u32 v2, v2, v8 :: v_dual_max_i32 v6, v4, v6
	v_subrev_nc_u32_e32 v12, s17, v2
	v_cmp_le_u32_e32 vcc_lo, s17, v2
	v_add_nc_u32_e32 v8, 1, v5
	s_delay_alu instid0(VALU_DEP_4) | instskip(SKIP_2) | instid1(VALU_DEP_3)
	v_mul_hi_u32 v10, v6, s13
	s_load_b128 s[12:15], s[0:1], 0x0
	v_dual_cndmask_b32 v2, v2, v12 :: v_dual_max_i32 v9, v3, v9
	v_cndmask_b32_e32 v5, v5, v8, vcc_lo
	s_delay_alu instid0(VALU_DEP_2) | instskip(NEXT) | instid1(VALU_DEP_3)
	v_cmp_le_u32_e32 vcc_lo, s17, v2
	v_mul_hi_u32 v11, v9, s2
	s_ashr_i32 s2, s3, 31
	v_mul_lo_u32 v8, v10, s16
	s_add_co_i32 s3, s8, -1
	v_xor_b32_e32 v7, s2, v7
	s_delay_alu instid0(VALU_DEP_3) | instskip(SKIP_1) | instid1(VALU_DEP_1)
	v_mul_lo_u32 v10, v11, s11
	v_add_nc_u32_e32 v11, 1, v5
	v_dual_cndmask_b32 v2, v5, v11 :: v_dual_sub_nc_u32 v5, v6, v8
	s_delay_alu instid0(VALU_DEP_1) | instskip(NEXT) | instid1(VALU_DEP_2)
	v_dual_sub_nc_u32 v6, v9, v10 :: v_dual_bitop2_b32 v2, v2, v7 bitop3:0x14
	v_subrev_nc_u32_e32 v8, s16, v5
	v_cmp_le_u32_e32 vcc_lo, s16, v5
	s_delay_alu instid0(VALU_DEP_3) | instskip(NEXT) | instid1(VALU_DEP_4)
	v_subrev_nc_u32_e32 v9, s11, v6
	v_sub_nc_u32_e32 v2, v2, v7
	v_mul_lo_u32 v7, v3, s10
	v_cndmask_b32_e32 v5, v5, v8, vcc_lo
	v_cmp_le_u32_e32 vcc_lo, s11, v6
	v_ashrrev_i32_e32 v3, 31, v3
	v_cvt_f32_i32_e32 v10, v2
	s_delay_alu instid0(VALU_DEP_4) | instskip(SKIP_3) | instid1(VALU_DEP_3)
	v_subrev_nc_u32_e32 v8, s16, v5
	v_cndmask_b32_e32 v6, v6, v9, vcc_lo
	v_cmp_le_u32_e32 vcc_lo, s16, v5
	v_sub_nc_u32_e32 v7, v0, v7
	v_subrev_nc_u32_e32 v9, s11, v6
	v_cndmask_b32_e32 v2, v5, v8, vcc_lo
	v_cmp_le_u32_e32 vcc_lo, s11, v6
	s_delay_alu instid0(VALU_DEP_3) | instskip(SKIP_3) | instid1(VALU_DEP_3)
	v_dual_cndmask_b32 v5, v6, v9 :: v_dual_ashrrev_i32 v4, 31, v4
	s_wait_kmcnt 0x0
	v_div_scale_f32 v6, null, s21, s21, v10
	v_div_scale_f32 v9, s0, v10, s21, v10
	v_xor_b32_e32 v5, v5, v3
	v_xor_b32_e32 v2, v2, v4
	s_delay_alu instid0(VALU_DEP_4) | instskip(NEXT) | instid1(VALU_DEP_1)
	v_rcp_f32_e32 v8, v6
	v_dual_sub_nc_u32 v2, v2, v4 :: v_dual_sub_nc_u32 v4, v5, v3
	v_cvt_f32_u32_e32 v3, v7
	s_delay_alu instid0(VALU_DEP_2) | instskip(NEXT) | instid1(VALU_DEP_3)
	v_cvt_f32_i32_e32 v5, v2
	v_cvt_f32_i32_e32 v2, v4
	s_delay_alu instid0(TRANS32_DEP_1) | instskip(NEXT) | instid1(VALU_DEP_3)
	v_fma_f32 v4, -v6, v8, 1.0
	v_div_scale_f32 v7, null, s20, s20, v5
	s_delay_alu instid0(VALU_DEP_3) | instskip(SKIP_1) | instid1(VALU_DEP_2)
	v_pk_add_f32 v[2:3], s[22:23], v[2:3] op_sel_hi:[0,1]
	v_div_scale_f32 v17, vcc_lo, v5, s20, v5
	v_div_scale_f32 v12, null, s19, s19, v2
	s_delay_alu instid0(VALU_DEP_3) | instskip(SKIP_1) | instid1(VALU_DEP_3)
	v_div_scale_f32 v11, null, s18, s18, v3
	v_div_scale_f32 v18, s1, v3, s18, v3
	v_rcp_f32_e32 v15, v12
	s_delay_alu instid0(VALU_DEP_2) | instskip(SKIP_1) | instid1(TRANS32_DEP_2)
	v_rcp_f32_e32 v14, v11
	v_div_scale_f32 v20, s2, v2, s19, v2
	v_fma_f32 v19, -v12, v15, 1.0
	v_fmac_f32_e32 v8, v4, v8
	v_rcp_f32_e32 v4, v7
	s_delay_alu instid0(VALU_DEP_2) | instskip(NEXT) | instid1(TRANS32_DEP_1)
	v_fmac_f32_e32 v15, v19, v15
	v_fma_f32 v16, -v7, v4, 1.0
	s_delay_alu instid0(VALU_DEP_2) | instskip(NEXT) | instid1(VALU_DEP_2)
	v_mul_f32_e32 v23, v20, v15
	v_fmac_f32_e32 v4, v16, v4
	v_fma_f32 v16, -v11, v14, 1.0
	s_delay_alu instid0(VALU_DEP_1) | instskip(NEXT) | instid1(VALU_DEP_1)
	v_dual_mul_f32 v13, v9, v8 :: v_dual_fmac_f32 v14, v16, v14
	v_dual_fma_f32 v16, -v6, v13, v9 :: v_dual_mul_f32 v21, v17, v4
	s_delay_alu instid0(VALU_DEP_1) | instskip(NEXT) | instid1(VALU_DEP_2)
	v_dual_mul_f32 v22, v18, v14 :: v_dual_fmac_f32 v13, v16, v8
	v_fma_f32 v19, -v7, v21, v17
	s_delay_alu instid0(VALU_DEP_2) | instskip(NEXT) | instid1(VALU_DEP_2)
	v_dual_fma_f32 v16, -v11, v22, v18 :: v_dual_fma_f32 v6, -v6, v13, v9
	v_dual_fmac_f32 v21, v19, v4 :: v_dual_fma_f32 v19, -v12, v23, v20
	s_delay_alu instid0(VALU_DEP_1) | instskip(NEXT) | instid1(VALU_DEP_1)
	v_dual_fmac_f32 v22, v16, v14 :: v_dual_fmac_f32 v23, v19, v15
	v_dual_fma_f32 v7, -v7, v21, v17 :: v_dual_fma_f32 v9, -v12, v23, v20
	s_delay_alu instid0(VALU_DEP_1) | instskip(NEXT) | instid1(VALU_DEP_3)
	v_div_fmas_f32 v4, v7, v4, v21
	v_fma_f32 v7, -v11, v22, v18
	s_mov_b32 vcc_lo, s0
	s_mov_b32 s0, s5
	v_div_fmas_f32 v6, v6, v8, v13
	s_mov_b32 vcc_lo, s1
	v_div_fixup_f32 v4, v4, s20, v5
	v_div_fmas_f32 v7, v7, v14, v22
	s_mov_b32 vcc_lo, s2
	v_mov_b32_e32 v5, v1
	v_div_fmas_f32 v8, v9, v15, v23
	s_add_co_i32 s2, s9, -1
	v_div_fixup_f32 v3, v7, s18, v3
	s_ashr_i32 s1, s5, 31
	s_delay_alu instid0(VALU_DEP_2) | instskip(SKIP_1) | instid1(VALU_DEP_2)
	v_div_fixup_f32 v2, v8, s19, v2
	v_div_fixup_f32 v8, v6, s21, v10
	v_pk_add_f32 v[2:3], v[2:3], s[22:23] op_sel_hi:[1,0] neg_lo:[0,1] neg_hi:[0,1]
	s_delay_alu instid0(VALU_DEP_2) | instskip(NEXT) | instid1(VALU_DEP_2)
	v_cvt_i32_f32_e32 v8, v8
	v_floor_f32_e32 v7, v2
	s_delay_alu instid0(VALU_DEP_1) | instskip(SKIP_1) | instid1(VALU_DEP_2)
	v_cvt_i32_f32_e32 v30, v7
	v_cvt_i32_f32_e32 v7, v4
	v_minmax_i32 v4, v30, s2, 0
	s_delay_alu instid0(VALU_DEP_2) | instskip(NEXT) | instid1(VALU_DEP_2)
	v_mad_nc_i64_i32 v[6:7], v7, s6, s[12:13]
	v_mul_u64_e32 v[10:11], s[0:1], v[4:5]
	v_floor_f32_e32 v4, v3
	s_delay_alu instid0(VALU_DEP_1) | instskip(SKIP_2) | instid1(VALU_DEP_3)
	v_cvt_i32_f32_e32 v31, v4
	v_add_nc_u32_e32 v4, 1, v30
	v_mad_nc_i64_i32 v[8:9], v8, s7, v[6:7]
	v_dual_add_nc_u32 v6, -1, v31 :: v_dual_add_nc_u32 v7, 1, v31
	s_delay_alu instid0(VALU_DEP_3) | instskip(SKIP_1) | instid1(VALU_DEP_3)
	v_minmax_i32 v4, v4, s2, 0
	v_add_nc_u32_e32 v18, 2, v31
	v_minmax_i32 v6, v6, s3, 0
	s_delay_alu instid0(VALU_DEP_3) | instskip(SKIP_2) | instid1(VALU_DEP_4)
	v_mul_u64_e32 v[12:13], s[0:1], v[4:5]
	v_minmax_i32 v5, v7, s3, 0
	v_minmax_i32 v4, v31, s3, 0
	v_mad_nc_i64_i32 v[14:15], v6, s4, v[8:9]
	s_delay_alu instid0(VALU_DEP_3) | instskip(NEXT) | instid1(VALU_DEP_3)
	v_mad_nc_i64_i32 v[6:7], v5, s4, v[8:9]
	v_mad_nc_i64_i32 v[16:17], v4, s4, v[8:9]
	v_minmax_i32 v4, v18, s3, 0
	s_mov_b32 s3, 0xbf400000
	s_delay_alu instid0(VALU_DEP_1)
	v_mad_nc_i64_i32 v[4:5], v4, s4, v[8:9]
	v_add_nc_u64_e32 v[18:19], v[14:15], v[10:11]
	v_add_nc_u64_e32 v[20:21], v[6:7], v[10:11]
	;; [unrolled: 1-line block ×3, first 2 shown]
	s_clause 0x2
	global_load_b32 v25, v[18:19], off
	global_load_b32 v9, v[20:21], off
	;; [unrolled: 1-line block ×3, first 2 shown]
	v_add_nc_u64_e32 v[10:11], v[4:5], v[10:11]
	s_wait_xcnt 0x2
	v_add_nc_u64_e32 v[18:19], v[14:15], v[12:13]
	s_wait_xcnt 0x0
	v_add_nc_u64_e32 v[22:23], v[6:7], v[12:13]
	v_add_nc_u64_e32 v[20:21], v[16:17], v[12:13]
	s_clause 0x3
	global_load_b32 v8, v[10:11], off
	global_load_b32 v27, v[18:19], off
	;; [unrolled: 1-line block ×4, first 2 shown]
	s_wait_xcnt 0x3
	v_add_nc_u64_e32 v[10:11], v[4:5], v[12:13]
	v_cvt_f32_i32_e32 v13, v31
	v_cvt_f32_i32_e32 v12, v30
	s_wait_xcnt 0x0
	v_add_nc_u32_e32 v20, 2, v30
	v_mov_b64_e32 v[18:19], 0x3f80000000000000
	global_load_b32 v28, v[10:11], off
	s_wait_xcnt 0x0
	v_dual_mov_b32 v11, v1 :: v_dual_add_nc_u32 v10, -1, v30
	v_pk_add_f32 v[2:3], v[2:3], v[12:13] neg_lo:[0,1] neg_hi:[0,1]
	v_mov_b32_e32 v13, v1
	v_minmax_i32 v12, v20, s2, 0
	s_delay_alu instid0(VALU_DEP_4)
	v_minmax_i32 v10, v10, s2, 0
	s_mov_b32 s2, 0x3fa00000
	v_sub_f32_e32 v31, 1.0, v3
	v_pk_add_f32 v[18:19], v[2:3], v[18:19] op_sel:[1,0]
	v_mul_u64_e32 v[12:13], s[0:1], v[12:13]
	v_mul_u64_e32 v[10:11], s[0:1], v[10:11]
	v_mov_b64_e32 v[20:21], 0x400000003f800000
	v_dual_mov_b32 v23, 0xc0c00000 :: v_dual_add_f32 v32, 0, v2
	v_fmaak_f32 v30, s3, v19, 0x40700000
	v_fmaak_f32 v34, s2, v18, 0xc0100000
	v_mov_b32_e32 v22, v18
	v_lshl_add_u64 v[0:1], v[0:1], 2, s[14:15]
	v_pk_add_f32 v[20:21], v[2:3], v[20:21] neg_lo:[1,0] neg_hi:[1,0]
	v_mul_f32_e32 v35, v19, v30
	v_dual_fmaak_f32 v3, s2, v31, 0xc0100000 :: v_dual_fmaak_f32 v42, s2, v32, 0xc0100000
	s_delay_alu instid0(VALU_DEP_3) | instskip(NEXT) | instid1(VALU_DEP_3)
	v_fmaak_f32 v30, s3, v21, 0x40700000
	v_pk_add_f32 v[22:23], v[34:35], v[22:23]
	v_pk_mul_f32 v[34:35], v[34:35], v[18:19]
	s_delay_alu instid0(VALU_DEP_4) | instskip(NEXT) | instid1(VALU_DEP_3)
	v_dual_fmaak_f32 v44, s2, v20, 0xc0100000 :: v_dual_mul_f32 v33, v31, v3
	v_mov_b32_e32 v35, v23
	s_delay_alu instid0(VALU_DEP_1)
	v_pk_fma_f32 v[18:19], v[18:19], v[34:35], v[36:37]
	v_add_nc_u64_e32 v[38:39], v[14:15], v[10:11]
	v_add_nc_u64_e32 v[22:23], v[16:17], v[10:11]
	v_add_nc_u64_e32 v[40:41], v[6:7], v[10:11]
	v_add_nc_u64_e32 v[10:11], v[4:5], v[10:11]
	v_add_nc_u64_e32 v[14:15], v[14:15], v[12:13]
	v_add_nc_u64_e32 v[16:17], v[16:17], v[12:13]
	v_add_nc_u64_e32 v[6:7], v[6:7], v[12:13]
	global_load_b32 v39, v[38:39], off
	v_add_nc_u64_e32 v[4:5], v[4:5], v[12:13]
	v_add_f32_e32 v13, 1.0, v2
	v_fmaak_f32 v43, v21, v30, 0xc0c00000
	v_mul_f32_e32 v30, v32, v42
	s_clause 0x1
	global_load_b32 v38, v[22:23], off
	global_load_b32 v35, v[40:41], off
	v_mul_f32_e32 v42, v20, v44
	global_load_b32 v34, v[10:11], off
	s_wait_xcnt 0x2
	v_pk_fma_f32 v[22:23], v[32:33], v[30:31], 1.0 op_sel_hi:[1,1,0]
	v_pk_fma_f32 v[20:21], v[20:21], v[42:43], v[36:37]
	s_wait_xcnt 0x0
	s_delay_alu instid0(VALU_DEP_1)
	v_dual_mov_b32 v11, v23 :: v_dual_mov_b32 v10, v21
	s_wait_loadcnt 0xb
	v_mul_f32_e32 v30, v25, v19
	s_wait_loadcnt 0xa
	v_mul_f32_e32 v32, v9, v23
	s_wait_loadcnt 0x9
	s_delay_alu instid0(VALU_DEP_2)
	v_pk_fma_f32 v[24:25], v[24:25], v[18:19], v[30:31] op_sel_hi:[1,1,0]
	s_clause 0x1
	global_load_b32 v3, v[14:15], off
	global_load_b32 v30, v[16:17], off
	v_pk_add_f32 v[24:25], v[32:33], v[24:25] op_sel_hi:[0,1]
	s_wait_loadcnt 0xa
	s_delay_alu instid0(VALU_DEP_1)
	v_pk_fma_f32 v[8:9], v[8:9], v[10:11], v[24:25]
	global_load_b32 v9, v[6:7], off
	s_wait_loadcnt 0xa
	s_wait_xcnt 0x0
	v_mul_f32_e32 v6, v19, v27
	s_wait_loadcnt 0x9
	v_mul_f32_e32 v14, v23, v29
	s_wait_loadcnt 0x8
	s_delay_alu instid0(VALU_DEP_2) | instskip(NEXT) | instid1(VALU_DEP_1)
	v_pk_fma_f32 v[6:7], v[18:19], v[26:27], v[6:7] op_sel_hi:[1,1,0]
	v_pk_add_f32 v[6:7], v[14:15], v[6:7] op_sel_hi:[0,1]
	v_fmaak_f32 v14, s3, v13, 0x40700000
	s_wait_loadcnt 0x7
	s_delay_alu instid0(VALU_DEP_2)
	v_pk_fma_f32 v[6:7], v[10:11], v[28:29], v[6:7]
	global_load_b32 v7, v[4:5], off
	s_wait_loadcnt 0x7
	s_wait_xcnt 0x0
	v_mul_f32_e32 v4, v39, v19
	s_wait_loadcnt 0x5
	v_mul_f32_e32 v12, v35, v23
	s_delay_alu instid0(VALU_DEP_2) | instskip(NEXT) | instid1(VALU_DEP_1)
	v_pk_fma_f32 v[4:5], v[38:39], v[18:19], v[4:5] op_sel_hi:[1,1,0]
	v_pk_add_f32 v[4:5], v[12:13], v[4:5] op_sel_hi:[0,1]
	s_wait_loadcnt 0x4
	s_delay_alu instid0(VALU_DEP_1) | instskip(SKIP_4) | instid1(VALU_DEP_2)
	v_pk_fma_f32 v[4:5], v[34:35], v[10:11], v[4:5]
	s_wait_loadcnt 0x3
	v_dual_mul_f32 v11, v19, v3 :: v_dual_fmaak_f32 v12, v13, v14, 0xc0c00000
	v_sub_f32_e32 v14, 2.0, v2
	s_wait_loadcnt 0x2
	v_dual_fmaak_f32 v10, v13, v12, 0x40400000 :: v_dual_mul_f32 v13, v18, v30
	v_mov_b32_e32 v12, v4
	s_delay_alu instid0(VALU_DEP_2) | instskip(NEXT) | instid1(VALU_DEP_2)
	v_pk_mul_f32 v[4:5], v[10:11], v[4:5]
	v_pk_add_f32 v[2:3], v[10:11], v[12:13]
	s_delay_alu instid0(VALU_DEP_1) | instskip(NEXT) | instid1(VALU_DEP_1)
	v_dual_fmaak_f32 v2, s3, v14, 0x40700000 :: v_dual_mov_b32 v5, v3
	v_fmaak_f32 v10, v14, v2, 0xc0c00000
	s_wait_loadcnt 0x1
	s_delay_alu instid0(VALU_DEP_2) | instskip(NEXT) | instid1(VALU_DEP_2)
	v_pk_fma_f32 v[2:3], v[22:23], v[8:9], v[4:5]
	v_fmaak_f32 v4, v14, v10, 0x40400000
	s_wait_loadcnt 0x0
	s_delay_alu instid0(VALU_DEP_2) | instskip(NEXT) | instid1(VALU_DEP_1)
	v_pk_fma_f32 v[2:3], v[20:21], v[6:7], v[2:3]
	v_fmac_f32_e32 v2, v4, v3
	global_store_b32 v[0:1], v2, off
.LBB3_2:
	s_endpgm
	.section	.rodata,"a",@progbits
	.p2align	6, 0x0
	.amdhsa_kernel _ZL19upscale_f32_bicubicPKfPfiiiiiiiiiifffff
		.amdhsa_group_segment_fixed_size 0
		.amdhsa_private_segment_fixed_size 0
		.amdhsa_kernarg_size 336
		.amdhsa_user_sgpr_count 2
		.amdhsa_user_sgpr_dispatch_ptr 0
		.amdhsa_user_sgpr_queue_ptr 0
		.amdhsa_user_sgpr_kernarg_segment_ptr 1
		.amdhsa_user_sgpr_dispatch_id 0
		.amdhsa_user_sgpr_kernarg_preload_length 0
		.amdhsa_user_sgpr_kernarg_preload_offset 0
		.amdhsa_user_sgpr_private_segment_size 0
		.amdhsa_wavefront_size32 1
		.amdhsa_uses_dynamic_stack 0
		.amdhsa_enable_private_segment 0
		.amdhsa_system_sgpr_workgroup_id_x 1
		.amdhsa_system_sgpr_workgroup_id_y 0
		.amdhsa_system_sgpr_workgroup_id_z 0
		.amdhsa_system_sgpr_workgroup_info 0
		.amdhsa_system_vgpr_workitem_id 0
		.amdhsa_next_free_vgpr 45
		.amdhsa_next_free_sgpr 24
		.amdhsa_named_barrier_count 0
		.amdhsa_reserve_vcc 1
		.amdhsa_float_round_mode_32 0
		.amdhsa_float_round_mode_16_64 0
		.amdhsa_float_denorm_mode_32 3
		.amdhsa_float_denorm_mode_16_64 3
		.amdhsa_fp16_overflow 0
		.amdhsa_memory_ordered 1
		.amdhsa_forward_progress 1
		.amdhsa_inst_pref_size 19
		.amdhsa_round_robin_scheduling 0
		.amdhsa_exception_fp_ieee_invalid_op 0
		.amdhsa_exception_fp_denorm_src 0
		.amdhsa_exception_fp_ieee_div_zero 0
		.amdhsa_exception_fp_ieee_overflow 0
		.amdhsa_exception_fp_ieee_underflow 0
		.amdhsa_exception_fp_ieee_inexact 0
		.amdhsa_exception_int_div_zero 0
	.end_amdhsa_kernel
	.section	.text._ZL19upscale_f32_bicubicPKfPfiiiiiiiiiifffff,"axG",@progbits,_ZL19upscale_f32_bicubicPKfPfiiiiiiiiiifffff,comdat
.Lfunc_end3:
	.size	_ZL19upscale_f32_bicubicPKfPfiiiiiiiiiifffff, .Lfunc_end3-_ZL19upscale_f32_bicubicPKfPfiiiiiiiiiifffff
                                        ; -- End function
	.set _ZL19upscale_f32_bicubicPKfPfiiiiiiiiiifffff.num_vgpr, 45
	.set _ZL19upscale_f32_bicubicPKfPfiiiiiiiiiifffff.num_agpr, 0
	.set _ZL19upscale_f32_bicubicPKfPfiiiiiiiiiifffff.numbered_sgpr, 24
	.set _ZL19upscale_f32_bicubicPKfPfiiiiiiiiiifffff.num_named_barrier, 0
	.set _ZL19upscale_f32_bicubicPKfPfiiiiiiiiiifffff.private_seg_size, 0
	.set _ZL19upscale_f32_bicubicPKfPfiiiiiiiiiifffff.uses_vcc, 1
	.set _ZL19upscale_f32_bicubicPKfPfiiiiiiiiiifffff.uses_flat_scratch, 0
	.set _ZL19upscale_f32_bicubicPKfPfiiiiiiiiiifffff.has_dyn_sized_stack, 0
	.set _ZL19upscale_f32_bicubicPKfPfiiiiiiiiiifffff.has_recursion, 0
	.set _ZL19upscale_f32_bicubicPKfPfiiiiiiiiiifffff.has_indirect_call, 0
	.section	.AMDGPU.csdata,"",@progbits
; Kernel info:
; codeLenInByte = 2344
; TotalNumSgprs: 26
; NumVgprs: 45
; ScratchSize: 0
; MemoryBound: 0
; FloatMode: 240
; IeeeMode: 1
; LDSByteSize: 0 bytes/workgroup (compile time only)
; SGPRBlocks: 0
; VGPRBlocks: 2
; NumSGPRsForWavesPerEU: 26
; NumVGPRsForWavesPerEU: 45
; NamedBarCnt: 0
; Occupancy: 16
; WaveLimiterHint : 0
; COMPUTE_PGM_RSRC2:SCRATCH_EN: 0
; COMPUTE_PGM_RSRC2:USER_SGPR: 2
; COMPUTE_PGM_RSRC2:TRAP_HANDLER: 0
; COMPUTE_PGM_RSRC2:TGID_X_EN: 1
; COMPUTE_PGM_RSRC2:TGID_Y_EN: 0
; COMPUTE_PGM_RSRC2:TGID_Z_EN: 0
; COMPUTE_PGM_RSRC2:TIDIG_COMP_CNT: 0
	.section	.AMDGPU.gpr_maximums,"",@progbits
	.set amdgpu.max_num_vgpr, 0
	.set amdgpu.max_num_agpr, 0
	.set amdgpu.max_num_sgpr, 0
	.section	.AMDGPU.csdata,"",@progbits
	.type	__hip_cuid_4b1e39446fae0ae5,@object ; @__hip_cuid_4b1e39446fae0ae5
	.section	.bss,"aw",@nobits
	.globl	__hip_cuid_4b1e39446fae0ae5
__hip_cuid_4b1e39446fae0ae5:
	.byte	0                               ; 0x0
	.size	__hip_cuid_4b1e39446fae0ae5, 1

	.ident	"AMD clang version 22.0.0git (https://github.com/RadeonOpenCompute/llvm-project roc-7.2.4 26084 f58b06dce1f9c15707c5f808fd002e18c2accf7e)"
	.section	".note.GNU-stack","",@progbits
	.addrsig
	.addrsig_sym __hip_cuid_4b1e39446fae0ae5
	.amdgpu_metadata
---
amdhsa.kernels:
  - .args:
      - .address_space:  global
        .offset:         0
        .size:           8
        .value_kind:     global_buffer
      - .address_space:  global
        .offset:         8
        .size:           8
        .value_kind:     global_buffer
      - .offset:         16
        .size:           4
        .value_kind:     by_value
      - .offset:         20
        .size:           4
        .value_kind:     by_value
      - .offset:         24
        .size:           4
        .value_kind:     by_value
      - .offset:         28
        .size:           4
        .value_kind:     by_value
      - .offset:         32
        .size:           4
        .value_kind:     by_value
      - .offset:         36
        .size:           4
        .value_kind:     by_value
      - .offset:         40
        .size:           4
        .value_kind:     by_value
      - .offset:         44
        .size:           4
        .value_kind:     by_value
      - .offset:         48
        .size:           4
        .value_kind:     by_value
      - .offset:         52
        .size:           4
        .value_kind:     by_value
      - .offset:         56
        .size:           4
        .value_kind:     by_value
      - .offset:         60
        .size:           4
        .value_kind:     by_value
      - .offset:         64
        .size:           4
        .value_kind:     hidden_block_count_x
      - .offset:         68
        .size:           4
        .value_kind:     hidden_block_count_y
      - .offset:         72
        .size:           4
        .value_kind:     hidden_block_count_z
      - .offset:         76
        .size:           2
        .value_kind:     hidden_group_size_x
      - .offset:         78
        .size:           2
        .value_kind:     hidden_group_size_y
      - .offset:         80
        .size:           2
        .value_kind:     hidden_group_size_z
      - .offset:         82
        .size:           2
        .value_kind:     hidden_remainder_x
      - .offset:         84
        .size:           2
        .value_kind:     hidden_remainder_y
      - .offset:         86
        .size:           2
        .value_kind:     hidden_remainder_z
      - .offset:         104
        .size:           8
        .value_kind:     hidden_global_offset_x
      - .offset:         112
        .size:           8
        .value_kind:     hidden_global_offset_y
      - .offset:         120
        .size:           8
        .value_kind:     hidden_global_offset_z
      - .offset:         128
        .size:           2
        .value_kind:     hidden_grid_dims
    .group_segment_fixed_size: 0
    .kernarg_segment_align: 8
    .kernarg_segment_size: 320
    .language:       OpenCL C
    .language_version:
      - 2
      - 0
    .max_flat_workgroup_size: 1024
    .name:           _ZL11upscale_f32PKfPfiiiiiiiiffff
    .private_segment_fixed_size: 0
    .sgpr_count:     24
    .sgpr_spill_count: 0
    .symbol:         _ZL11upscale_f32PKfPfiiiiiiiiffff.kd
    .uniform_work_group_size: 1
    .uses_dynamic_stack: false
    .vgpr_count:     23
    .vgpr_spill_count: 0
    .wavefront_size: 32
  - .args:
      - .address_space:  global
        .offset:         0
        .size:           8
        .value_kind:     global_buffer
      - .address_space:  global
        .offset:         8
        .size:           8
        .value_kind:     global_buffer
      - .offset:         16
        .size:           4
        .value_kind:     by_value
      - .offset:         20
        .size:           4
        .value_kind:     by_value
      - .offset:         24
        .size:           4
        .value_kind:     by_value
      - .offset:         28
        .size:           4
        .value_kind:     by_value
      - .offset:         32
        .size:           4
        .value_kind:     by_value
      - .offset:         36
        .size:           4
        .value_kind:     by_value
      - .offset:         40
        .size:           4
        .value_kind:     by_value
      - .offset:         44
        .size:           4
        .value_kind:     by_value
      - .offset:         48
        .size:           4
        .value_kind:     by_value
      - .offset:         52
        .size:           4
        .value_kind:     by_value
      - .offset:         56
        .size:           4
        .value_kind:     by_value
      - .offset:         60
        .size:           4
        .value_kind:     by_value
      - .offset:         64
        .size:           4
        .value_kind:     by_value
      - .offset:         68
        .size:           4
        .value_kind:     by_value
      - .offset:         72
        .size:           4
        .value_kind:     by_value
      - .offset:         80
        .size:           4
        .value_kind:     hidden_block_count_x
      - .offset:         84
        .size:           4
        .value_kind:     hidden_block_count_y
      - .offset:         88
        .size:           4
        .value_kind:     hidden_block_count_z
      - .offset:         92
        .size:           2
        .value_kind:     hidden_group_size_x
      - .offset:         94
        .size:           2
        .value_kind:     hidden_group_size_y
      - .offset:         96
        .size:           2
        .value_kind:     hidden_group_size_z
      - .offset:         98
        .size:           2
        .value_kind:     hidden_remainder_x
      - .offset:         100
        .size:           2
        .value_kind:     hidden_remainder_y
      - .offset:         102
        .size:           2
        .value_kind:     hidden_remainder_z
      - .offset:         120
        .size:           8
        .value_kind:     hidden_global_offset_x
      - .offset:         128
        .size:           8
        .value_kind:     hidden_global_offset_y
      - .offset:         136
        .size:           8
        .value_kind:     hidden_global_offset_z
      - .offset:         144
        .size:           2
        .value_kind:     hidden_grid_dims
    .group_segment_fixed_size: 0
    .kernarg_segment_align: 8
    .kernarg_segment_size: 336
    .language:       OpenCL C
    .language_version:
      - 2
      - 0
    .max_flat_workgroup_size: 1024
    .name:           _ZL20upscale_f32_bilinearPKfPfiiiiiiiiiifffff
    .private_segment_fixed_size: 0
    .sgpr_count:     26
    .sgpr_spill_count: 0
    .symbol:         _ZL20upscale_f32_bilinearPKfPfiiiiiiiiiifffff.kd
    .uniform_work_group_size: 1
    .uses_dynamic_stack: false
    .vgpr_count:     25
    .vgpr_spill_count: 0
    .wavefront_size: 32
  - .args:
      - .address_space:  global
        .offset:         0
        .size:           8
        .value_kind:     global_buffer
      - .address_space:  global
        .offset:         8
        .size:           8
        .value_kind:     global_buffer
      - .offset:         16
        .size:           4
        .value_kind:     by_value
      - .offset:         20
        .size:           4
        .value_kind:     by_value
      - .offset:         24
        .size:           4
        .value_kind:     by_value
      - .offset:         28
        .size:           4
        .value_kind:     by_value
      - .offset:         32
        .size:           4
        .value_kind:     by_value
      - .offset:         36
        .size:           4
        .value_kind:     by_value
      - .offset:         40
        .size:           4
        .value_kind:     by_value
      - .offset:         44
        .size:           4
        .value_kind:     by_value
      - .offset:         48
        .size:           4
        .value_kind:     by_value
      - .offset:         52
        .size:           4
        .value_kind:     by_value
      - .offset:         56
        .size:           4
        .value_kind:     by_value
      - .offset:         60
        .size:           4
        .value_kind:     by_value
      - .offset:         64
        .size:           4
        .value_kind:     by_value
      - .offset:         68
        .size:           4
        .value_kind:     by_value
      - .offset:         72
        .size:           4
        .value_kind:     by_value
      - .offset:         80
        .size:           4
        .value_kind:     hidden_block_count_x
      - .offset:         84
        .size:           4
        .value_kind:     hidden_block_count_y
      - .offset:         88
        .size:           4
        .value_kind:     hidden_block_count_z
      - .offset:         92
        .size:           2
        .value_kind:     hidden_group_size_x
      - .offset:         94
        .size:           2
        .value_kind:     hidden_group_size_y
      - .offset:         96
        .size:           2
        .value_kind:     hidden_group_size_z
      - .offset:         98
        .size:           2
        .value_kind:     hidden_remainder_x
      - .offset:         100
        .size:           2
        .value_kind:     hidden_remainder_y
      - .offset:         102
        .size:           2
        .value_kind:     hidden_remainder_z
      - .offset:         120
        .size:           8
        .value_kind:     hidden_global_offset_x
      - .offset:         128
        .size:           8
        .value_kind:     hidden_global_offset_y
      - .offset:         136
        .size:           8
        .value_kind:     hidden_global_offset_z
      - .offset:         144
        .size:           2
        .value_kind:     hidden_grid_dims
    .group_segment_fixed_size: 0
    .kernarg_segment_align: 8
    .kernarg_segment_size: 336
    .language:       OpenCL C
    .language_version:
      - 2
      - 0
    .max_flat_workgroup_size: 1024
    .name:           _ZL30upscale_f32_bilinear_antialiasPKfPfiiiiiiiiiifffff
    .private_segment_fixed_size: 0
    .sgpr_count:     27
    .sgpr_spill_count: 0
    .symbol:         _ZL30upscale_f32_bilinear_antialiasPKfPfiiiiiiiiiifffff.kd
    .uniform_work_group_size: 1
    .uses_dynamic_stack: false
    .vgpr_count:     33
    .vgpr_spill_count: 0
    .wavefront_size: 32
  - .args:
      - .address_space:  global
        .offset:         0
        .size:           8
        .value_kind:     global_buffer
      - .address_space:  global
        .offset:         8
        .size:           8
        .value_kind:     global_buffer
      - .offset:         16
        .size:           4
        .value_kind:     by_value
      - .offset:         20
        .size:           4
        .value_kind:     by_value
      - .offset:         24
        .size:           4
        .value_kind:     by_value
      - .offset:         28
        .size:           4
        .value_kind:     by_value
      - .offset:         32
        .size:           4
        .value_kind:     by_value
      - .offset:         36
        .size:           4
        .value_kind:     by_value
      - .offset:         40
        .size:           4
        .value_kind:     by_value
      - .offset:         44
        .size:           4
        .value_kind:     by_value
      - .offset:         48
        .size:           4
        .value_kind:     by_value
      - .offset:         52
        .size:           4
        .value_kind:     by_value
      - .offset:         56
        .size:           4
        .value_kind:     by_value
      - .offset:         60
        .size:           4
        .value_kind:     by_value
      - .offset:         64
        .size:           4
        .value_kind:     by_value
      - .offset:         68
        .size:           4
        .value_kind:     by_value
      - .offset:         72
        .size:           4
        .value_kind:     by_value
      - .offset:         80
        .size:           4
        .value_kind:     hidden_block_count_x
      - .offset:         84
        .size:           4
        .value_kind:     hidden_block_count_y
      - .offset:         88
        .size:           4
        .value_kind:     hidden_block_count_z
      - .offset:         92
        .size:           2
        .value_kind:     hidden_group_size_x
      - .offset:         94
        .size:           2
        .value_kind:     hidden_group_size_y
      - .offset:         96
        .size:           2
        .value_kind:     hidden_group_size_z
      - .offset:         98
        .size:           2
        .value_kind:     hidden_remainder_x
      - .offset:         100
        .size:           2
        .value_kind:     hidden_remainder_y
      - .offset:         102
        .size:           2
        .value_kind:     hidden_remainder_z
      - .offset:         120
        .size:           8
        .value_kind:     hidden_global_offset_x
      - .offset:         128
        .size:           8
        .value_kind:     hidden_global_offset_y
      - .offset:         136
        .size:           8
        .value_kind:     hidden_global_offset_z
      - .offset:         144
        .size:           2
        .value_kind:     hidden_grid_dims
    .group_segment_fixed_size: 0
    .kernarg_segment_align: 8
    .kernarg_segment_size: 336
    .language:       OpenCL C
    .language_version:
      - 2
      - 0
    .max_flat_workgroup_size: 1024
    .name:           _ZL19upscale_f32_bicubicPKfPfiiiiiiiiiifffff
    .private_segment_fixed_size: 0
    .sgpr_count:     26
    .sgpr_spill_count: 0
    .symbol:         _ZL19upscale_f32_bicubicPKfPfiiiiiiiiiifffff.kd
    .uniform_work_group_size: 1
    .uses_dynamic_stack: false
    .vgpr_count:     45
    .vgpr_spill_count: 0
    .wavefront_size: 32
amdhsa.target:   amdgcn-amd-amdhsa--gfx1250
amdhsa.version:
  - 1
  - 2
...

	.end_amdgpu_metadata
